;; amdgpu-corpus repo=ggml-org/llama.cpp kind=compiled arch=gfx1250 opt=O3
	.amdgcn_target "amdgcn-amd-amdhsa--gfx1250"
	.amdhsa_code_object_version 6
	.section	.text._ZL13mm_ids_helperILi2EEvPKiPiS2_S2_iiiii,"axG",@progbits,_ZL13mm_ids_helperILi2EEvPKiPiS2_S2_iiiii,comdat
	.globl	_ZL13mm_ids_helperILi2EEvPKiPiS2_S2_iiiii ; -- Begin function _ZL13mm_ids_helperILi2EEvPKiPiS2_S2_iiiii
	.p2align	8
	.type	_ZL13mm_ids_helperILi2EEvPKiPiS2_S2_iiiii,@function
_ZL13mm_ids_helperILi2EEvPKiPiS2_S2_iiiii: ; @_ZL13mm_ids_helperILi2EEvPKiPiS2_S2_iiiii
; %bb.0:
	s_load_b32 s30, s[0:1], 0x20
	s_bfe_u32 s2, ttmp6, 0x4000c
	s_and_b32 s3, ttmp6, 15
	s_add_co_i32 s2, s2, 1
	s_getreg_b32 s4, hwreg(HW_REG_IB_STS2, 6, 4)
	s_mul_i32 s2, ttmp9, s2
	v_mbcnt_lo_u32_b32 v2, -1, 0
	s_add_co_i32 s3, s3, s2
	s_cmp_eq_u32 s4, 0
	s_mov_b32 s2, 0
	s_cselect_b32 s27, ttmp9, s3
	s_wait_kmcnt 0x0
	s_cmp_gt_i32 s30, 0
	s_cbranch_scc1 .LBB0_2
; %bb.1:
	v_mbcnt_lo_u32_b32 v4, -1, 0
	s_delay_alu instid0(VALU_DEP_1)
	v_dual_mov_b32 v3, 0 :: v_dual_bitop2_b32 v1, 1, v4 bitop3:0x14
	s_branch .LBB0_3
.LBB0_2:
	s_mov_b32 s2, -1
                                        ; implicit-def: $vgpr4
                                        ; implicit-def: $vgpr3
                                        ; implicit-def: $vgpr1
.LBB0_3:
	s_clause 0x2
	s_load_b128 s[20:23], s[0:1], 0x8
	s_load_b64 s[18:19], s[0:1], 0x18
	s_load_b96 s[24:26], s[0:1], 0x28
	v_dual_mov_b32 v8, 0 :: v_dual_mov_b32 v5, 0
	s_and_not1_b32 vcc_lo, exec_lo, s2
	s_cbranch_vccnz .LBB0_11
; %bb.4:
	v_dual_lshrrev_b32 v4, 1, v0 :: v_dual_bitop2_b32 v3, 30, v2 bitop3:0x40
	v_xor_b32_e32 v1, 1, v2
	v_dual_mov_b32 v6, 0x7c :: v_dual_add_nc_u32 v9, -2, v2
	s_delay_alu instid0(VALU_DEP_3) | instskip(SKIP_2) | instid1(VALU_DEP_3)
	v_dual_add_nc_u32 v5, 2, v3 :: v_dual_bitop2_b32 v8, 1, v0 bitop3:0x40
	v_dual_mov_b32 v3, 0 :: v_dual_add_nc_u32 v16, -14, v2
	v_add_nc_u32_e32 v17, -16, v2
	v_cmp_lt_i32_e32 vcc_lo, v1, v5
	v_subrev_nc_u32_e32 v18, 18, v2
	v_subrev_nc_u32_e32 v20, 22, v2
	;; [unrolled: 1-line block ×4, first 2 shown]
	v_dual_cndmask_b32 v5, v2, v1 :: v_dual_add_nc_u32 v10, -4, v2
	v_cmp_gt_i32_e32 vcc_lo, 0, v9
	v_lshlrev_b32_e32 v7, 22, v8
	s_load_b64 s[28:29], s[0:1], 0x0
	v_subrev_nc_u32_e32 v23, 30, v2
	s_wait_kmcnt 0x0
	v_mad_u32 v24, s25, v4, v8
	v_cndmask_b32_e32 v11, v9, v2, vcc_lo
	v_cmp_gt_i32_e32 vcc_lo, 0, v10
	v_dual_add_nc_u32 v12, -6, v2 :: v_dual_lshlrev_b32 v9, 2, v5
	v_cmp_gt_u32_e64 s2, 2, v0
	v_cmp_gt_u32_e64 s3, 4, v0
	v_dual_cndmask_b32 v5, v10, v2 :: v_dual_lshlrev_b32 v10, 2, v11
	v_add_nc_u32_e32 v13, -8, v2
	v_cmp_gt_i32_e32 vcc_lo, 0, v12
	v_cmp_gt_u32_e64 s4, 6, v0
	s_delay_alu instid0(VALU_DEP_4)
	v_lshlrev_b32_e32 v11, 2, v5
	v_cmp_gt_u32_e64 s5, 8, v0
	v_cmp_gt_u32_e64 s6, 10, v0
	v_cndmask_b32_e32 v5, v12, v2, vcc_lo
	v_cmp_gt_i32_e32 vcc_lo, 0, v13
	v_cmp_gt_u32_e64 s7, 12, v0
	v_cmp_gt_u32_e64 s8, 14, v0
	;; [unrolled: 1-line block ×4, first 2 shown]
	v_dual_cndmask_b32 v13, v13, v2 :: v_dual_add_nc_u32 v14, -10, v2
	v_dual_lshlrev_b32 v12, 2, v5 :: v_dual_add_nc_u32 v5, -12, v2
	v_cmp_gt_u32_e64 s11, 20, v0
	s_delay_alu instid0(VALU_DEP_3) | instskip(NEXT) | instid1(VALU_DEP_4)
	v_lshlrev_b32_e32 v13, 2, v13
	v_cmp_gt_i32_e32 vcc_lo, 0, v14
	v_cmp_gt_u32_e64 s12, 22, v0
	v_cmp_gt_u32_e64 s13, 24, v0
	;; [unrolled: 1-line block ×4, first 2 shown]
	v_cndmask_b32_e32 v14, v14, v2, vcc_lo
	v_cmp_gt_i32_e32 vcc_lo, 0, v5
	v_cmp_gt_u32_e64 s16, 30, v0
	v_mov_b32_e32 v26, 0
	s_lshl_b32 s25, s25, 4
	v_dual_mov_b32 v8, 0 :: v_dual_cndmask_b32 v5, v5, v2
	v_cmp_gt_i32_e32 vcc_lo, 0, v16
	s_delay_alu instid0(VALU_DEP_2) | instskip(SKIP_4) | instid1(VALU_DEP_4)
	v_dual_lshlrev_b32 v14, 2, v14 :: v_dual_lshlrev_b32 v15, 2, v5
	v_cndmask_b32_e32 v5, v16, v2, vcc_lo
	v_cmp_gt_i32_e32 vcc_lo, 0, v17
	v_cndmask_b32_e32 v17, v17, v2, vcc_lo
	v_cmp_gt_i32_e32 vcc_lo, 0, v18
	v_lshlrev_b32_e32 v16, 2, v5
	v_subrev_nc_u32_e32 v5, 20, v2
	v_cndmask_b32_e32 v18, v18, v2, vcc_lo
	s_delay_alu instid0(VALU_DEP_2) | instskip(SKIP_2) | instid1(VALU_DEP_2)
	v_cmp_gt_i32_e32 vcc_lo, 0, v5
	v_dual_lshlrev_b32 v17, 2, v17 :: v_dual_cndmask_b32 v5, v5, v2, vcc_lo
	v_cmp_gt_i32_e32 vcc_lo, 0, v20
	v_dual_lshlrev_b32 v18, 2, v18 :: v_dual_lshlrev_b32 v19, 2, v5
	v_cndmask_b32_e32 v5, v20, v2, vcc_lo
	v_cmp_gt_i32_e32 vcc_lo, 0, v21
	v_cndmask_b32_e32 v21, v21, v2, vcc_lo
	v_cmp_gt_i32_e32 vcc_lo, 0, v22
	s_delay_alu instid0(VALU_DEP_4) | instskip(SKIP_2) | instid1(VALU_DEP_2)
	v_lshlrev_b32_e32 v20, 2, v5
	v_subrev_nc_u32_e32 v5, 28, v2
	v_cndmask_b32_e32 v22, v22, v2, vcc_lo
	v_cmp_gt_i32_e32 vcc_lo, 0, v5
	v_dual_lshlrev_b32 v21, 2, v21 :: v_dual_cndmask_b32 v5, v5, v2, vcc_lo
	v_cmp_gt_i32_e32 vcc_lo, 0, v23
	s_delay_alu instid0(VALU_DEP_4) | instskip(NEXT) | instid1(VALU_DEP_3)
	v_lshlrev_b32_e32 v22, 2, v22
	v_dual_cndmask_b32 v25, v23, v2, vcc_lo :: v_dual_lshlrev_b32 v23, 2, v5
	s_delay_alu instid0(VALU_DEP_1)
	v_dual_mov_b32 v5, 0 :: v_dual_lshlrev_b32 v25, 2, v25
	s_branch .LBB0_6
.LBB0_5:                                ;   in Loop: Header=BB0_6 Depth=1
	s_or_b32 exec_lo, exec_lo, s17
	s_delay_alu instid0(VALU_DEP_1)
	v_dual_add_nc_u32 v28, v30, v29 :: v_dual_add_nc_u32 v26, 16, v26
	v_cmp_gt_i32_e64 s17, s27, v27
	v_add_nc_u32_e32 v24, s25, v24
	ds_bpermute_b32 v28, v6, v28
	v_cmp_le_i32_e32 vcc_lo, s30, v26
	v_add_co_ci_u32_e64 v8, null, 0, v8, s17
	s_wait_dscnt 0x0
	v_add_nc_u32_e32 v5, v28, v5
	s_cbranch_vccnz .LBB0_10
.LBB0_6:                                ; =>This Inner Loop Header: Depth=1
	v_add_nc_u32_e32 v28, v4, v26
	v_bfrev_b32_e32 v27, -2
	s_mov_b32 s17, exec_lo
	s_delay_alu instid0(VALU_DEP_2)
	v_cmpx_gt_i32_e64 s30, v28
	s_cbranch_execz .LBB0_8
; %bb.7:                                ;   in Loop: Header=BB0_6 Depth=1
	global_load_b32 v27, v24, s[28:29] scale_offset
.LBB0_8:                                ;   in Loop: Header=BB0_6 Depth=1
	s_wait_xcnt 0x0
	s_or_b32 exec_lo, exec_lo, s17
	s_wait_loadcnt 0x0
	v_cmp_eq_u32_e32 vcc_lo, s27, v27
	v_cndmask_b32_e64 v29, 0, 1, vcc_lo
	ds_bpermute_b32 v30, v9, v29
	s_wait_dscnt 0x0
	v_or_b32_e32 v29, v30, v29
	s_delay_alu instid0(VALU_DEP_1) | instskip(NEXT) | instid1(VALU_DEP_1)
	v_cmp_ne_u32_e64 s17, 0, v29
	v_cndmask_b32_e64 v29, 0, 1, s17
	ds_bpermute_b32 v30, v10, v29
	ds_bpermute_b32 v31, v11, v29
	;; [unrolled: 1-line block ×13, first 2 shown]
	s_wait_dscnt 0xc
	v_cndmask_b32_e64 v30, v30, 0, s2
	s_wait_dscnt 0xb
	v_cndmask_b32_e64 v31, v31, 0, s3
	;; [unrolled: 2-line block ×5, first 2 shown]
	v_add3_u32 v30, v31, v30, v32
	ds_bpermute_b32 v31, v23, v29
	s_wait_dscnt 0x8
	v_cndmask_b32_e64 v32, v35, 0, s7
	s_wait_dscnt 0x7
	v_cndmask_b32_e64 v35, v36, 0, s8
	;; [unrolled: 2-line block ×3, first 2 shown]
	v_add3_u32 v30, v33, v30, v34
	ds_bpermute_b32 v33, v25, v29
	v_cndmask_b32_e64 v34, v37, 0, s9
	v_add3_u32 v30, v32, v30, v35
	s_wait_dscnt 0x5
	v_cndmask_b32_e64 v32, v39, 0, s11
	s_wait_dscnt 0x4
	v_cndmask_b32_e64 v35, v40, 0, s12
	v_add3_u32 v30, v34, v30, v36
	s_wait_dscnt 0x3
	v_cndmask_b32_e64 v34, v41, 0, s13
	s_wait_dscnt 0x2
	v_cndmask_b32_e64 v36, v42, 0, s14
	v_add3_u32 v30, v32, v30, v35
	s_wait_dscnt 0x1
	v_cndmask_b32_e64 v31, v31, 0, s15
	s_delay_alu instid0(VALU_DEP_2) | instskip(SKIP_2) | instid1(VALU_DEP_1)
	v_add3_u32 v30, v34, v30, v36
	s_wait_dscnt 0x0
	v_cndmask_b32_e64 v32, v33, 0, s16
	v_add3_u32 v30, v31, v30, v32
	s_and_saveexec_b32 s17, vcc_lo
	s_cbranch_execz .LBB0_5
; %bb.9:                                ;   in Loop: Header=BB0_6 Depth=1
	s_delay_alu instid0(VALU_DEP_1) | instskip(SKIP_1) | instid1(VALU_DEP_2)
	v_dual_lshlrev_b32 v31, 2, v5 :: v_dual_lshlrev_b32 v32, 2, v30
	v_and_or_b32 v28, 0x3fffff, v28, v7
	v_add3_u32 v31, 0, v31, v32
	ds_store_b32 v31, v28
	s_branch .LBB0_5
.LBB0_10:
	v_mov_b32_e32 v4, v2
.LBB0_11:
	s_delay_alu instid0(VALU_DEP_1) | instskip(SKIP_1) | instid1(VALU_DEP_1)
	v_dual_add_nc_u32 v2, 32, v3 :: v_dual_bitop2_b32 v3, 16, v4 bitop3:0x14
	s_mov_b32 s6, exec_lo
	v_cmp_lt_i32_e32 vcc_lo, v3, v2
	v_cndmask_b32_e32 v3, v4, v3, vcc_lo
	s_delay_alu instid0(VALU_DEP_1) | instskip(SKIP_2) | instid1(VALU_DEP_1)
	v_lshlrev_b32_e32 v3, 2, v3
	ds_bpermute_b32 v10, v3, v8
	v_xor_b32_e32 v3, 8, v4
	v_cmp_lt_i32_e32 vcc_lo, v3, v2
	v_cndmask_b32_e32 v3, v4, v3, vcc_lo
	s_wait_dscnt 0x0
	s_delay_alu instid0(VALU_DEP_1) | instskip(SKIP_2) | instid1(VALU_DEP_1)
	v_dual_lshlrev_b32 v3, 2, v3 :: v_dual_add_nc_u32 v6, v10, v8
	ds_bpermute_b32 v11, v3, v6
	v_xor_b32_e32 v3, 4, v4
	v_cmp_lt_i32_e32 vcc_lo, v3, v2
	v_cndmask_b32_e32 v3, v4, v3, vcc_lo
	s_wait_dscnt 0x0
	s_delay_alu instid0(VALU_DEP_1) | instskip(SKIP_2) | instid1(VALU_DEP_1)
	v_dual_lshlrev_b32 v3, 2, v3 :: v_dual_add_nc_u32 v6, v11, v6
	ds_bpermute_b32 v12, v3, v6
	v_xor_b32_e32 v3, 2, v4
	v_cmp_lt_i32_e32 vcc_lo, v3, v2
	v_cndmask_b32_e32 v3, v4, v3, vcc_lo
	v_cmp_lt_i32_e32 vcc_lo, v1, v2
	s_delay_alu instid0(VALU_DEP_2) | instskip(SKIP_1) | instid1(VALU_DEP_1)
	v_dual_lshlrev_b32 v3, 2, v3 :: v_dual_cndmask_b32 v1, v4, v1, vcc_lo
	s_wait_dscnt 0x0
	v_dual_add_nc_u32 v6, v12, v6 :: v_dual_lshlrev_b32 v1, 2, v1
	ds_bpermute_b32 v13, v3, v6
	s_wait_dscnt 0x0
	v_add_nc_u32_e32 v2, v13, v6
	ds_bpermute_b32 v14, v1, v2
	s_wait_dscnt 0x0
	v_add_nc_u32_e32 v9, v14, v2
	v_cmpx_lt_i32_e64 v0, v5
	s_cbranch_execz .LBB0_25
; %bb.12:
	v_xad_u32 v2, v0, -1, v5
	v_mov_b32_e32 v1, v0
	s_mov_b32 s2, -1
	s_mov_b32 s8, exec_lo
	s_delay_alu instid0(VALU_DEP_2)
	v_cmp_gt_u32_e64 s7, 0x1a0, v2
	v_cmpx_lt_u32_e32 0x19f, v2
	s_cbranch_execz .LBB0_22
; %bb.13:
	v_and_b32_e32 v1, 0xffffffe0, v2
	v_add_nc_u32_e32 v3, v9, v0
	s_delay_alu instid0(VALU_DEP_1) | instskip(NEXT) | instid1(VALU_DEP_1)
	v_add_nc_u32_e32 v1, v3, v1
	v_cmp_ge_i32_e32 vcc_lo, v1, v3
	v_mov_b32_e32 v1, v0
	s_and_saveexec_b32 s9, vcc_lo
	s_cbranch_execz .LBB0_21
; %bb.14:
	v_dual_lshrrev_b32 v15, 5, v2 :: v_dual_add_nc_u32 v1, 32, v0
	s_mov_b32 s10, exec_lo
	s_delay_alu instid0(VALU_DEP_1) | instskip(NEXT) | instid1(VALU_DEP_2)
	v_dual_mov_b32 v4, 0 :: v_dual_add_nc_u32 v16, -1, v15
	v_mov_b64_e32 v[2:3], v[0:1]
	s_delay_alu instid0(VALU_DEP_2)
	v_cmpx_lt_u32_e32 1, v16
	s_cbranch_execz .LBB0_18
; %bb.15:
	s_wait_kmcnt 0x0
	s_abs_i32 s11, s24
	v_lshl_add_u32 v17, v0, 2, 0
	s_cvt_f32_u32 s2, s11
	s_sub_co_i32 s3, 0, s11
	s_mov_b32 s5, 0
	v_add_nc_u32_e32 v4, 64, v9
	v_rcp_iflag_f32_e32 v2, s2
	s_mov_b32 s12, s5
	s_mov_b32 s13, s5
	v_nop
	s_delay_alu instid0(TRANS32_DEP_1) | instskip(SKIP_2) | instid1(VALU_DEP_1)
	v_readfirstlane_b32 s2, v2
	v_dual_mov_b32 v7, 0 :: v_dual_lshrrev_b32 v2, 1, v16
	s_mul_f32 s2, s2, 0x4f7ffffe
	v_add_nc_u32_e32 v6, 1, v2
	v_mov_b64_e32 v[2:3], v[0:1]
	v_mov_b32_e32 v1, v4
	s_cvt_u32_f32 s2, s2
	s_delay_alu instid0(VALU_DEP_3) | instskip(NEXT) | instid1(SALU_CYCLE_2)
	v_and_b32_e32 v18, -2, v6
	s_mul_i32 s3, s3, s2
	s_delay_alu instid0(SALU_CYCLE_1) | instskip(NEXT) | instid1(SALU_CYCLE_1)
	s_mul_hi_u32 s3, s2, s3
	s_add_co_i32 s4, s2, s3
.LBB0_16:                               ; =>This Inner Loop Header: Depth=1
	ds_load_2addr_b32 v[20:21], v17 offset1:32
	ds_load_2addr_b32 v[24:25], v17 offset0:64 offset1:96
	v_dual_mov_b32 v23, v7 :: v_dual_add_nc_u32 v31, v2, v9
	v_dual_mov_b32 v27, v7 :: v_dual_add_nc_u32 v18, -2, v18
	s_add_co_i32 s13, s13, 4
	v_dual_add_nc_u32 v30, v3, v9 :: v_dual_add_nc_u32 v33, v2, v4
	v_dual_mov_b32 v19, s13 :: v_dual_add_nc_u32 v32, v3, v1
	s_delay_alu instid0(VALU_DEP_3)
	v_cmp_eq_u32_e32 vcc_lo, 0, v18
	s_or_b32 s12, vcc_lo, s12
	s_wait_dscnt 0x1
	v_dual_lshrrev_b32 v6, 22, v20 :: v_dual_lshrrev_b32 v22, 22, v21
	v_and_b32_e32 v34, 0x3fffff, v21
	v_and_b32_e32 v35, 0x3fffff, v20
	s_wait_dscnt 0x0
	v_and_b32_e32 v36, 0x3fffff, v25
	v_mul_u64_e32 v[20:21], s[4:5], v[6:7]
	v_mul_u64_e32 v[28:29], s[4:5], v[22:23]
	v_and_b32_e32 v37, 0x3fffff, v24
	v_lshl_add_u32 v23, v35, 1, v6
	s_delay_alu instid0(VALU_DEP_4) | instskip(NEXT) | instid1(VALU_DEP_1)
	v_mul_lo_u32 v20, v21, s11
	v_dual_lshrrev_b32 v26, 22, v25 :: v_dual_sub_nc_u32 v28, v6, v20
	s_delay_alu instid0(VALU_DEP_1) | instskip(SKIP_1) | instid1(VALU_DEP_3)
	v_mul_u64_e32 v[20:21], s[4:5], v[26:27]
	v_mul_lo_u32 v20, v29, s11
	v_cmp_le_u32_e64 s3, s11, v28
	s_delay_alu instid0(VALU_DEP_3) | instskip(NEXT) | instid1(VALU_DEP_1)
	v_mul_lo_u32 v21, v21, s11
	v_dual_lshrrev_b32 v6, 22, v24 :: v_dual_sub_nc_u32 v21, v26, v21
	s_delay_alu instid0(VALU_DEP_1) | instskip(SKIP_2) | instid1(VALU_DEP_4)
	v_mul_u64_e32 v[24:25], s[4:5], v[6:7]
	v_subrev_nc_u32_e32 v24, s11, v28
	v_lshl_add_u32 v26, v36, 1, v26
	v_subrev_nc_u32_e32 v29, s11, v21
	v_cmp_le_u32_e64 s2, s11, v21
	v_sub_nc_u32_e32 v20, v22, v20
	v_lshl_add_u32 v22, v34, 1, v22
	s_delay_alu instid0(VALU_DEP_3) | instskip(NEXT) | instid1(VALU_DEP_3)
	v_cndmask_b32_e64 v21, v21, v29, s2
	v_subrev_nc_u32_e32 v27, s11, v20
	v_cmp_le_u32_e32 vcc_lo, s11, v20
	v_add_nc_u32_e32 v17, 0x200, v17
	s_delay_alu instid0(VALU_DEP_4) | instskip(SKIP_2) | instid1(VALU_DEP_2)
	v_subrev_nc_u32_e32 v29, s11, v21
	v_cmp_le_u32_e64 s2, s11, v21
	v_cndmask_b32_e64 v24, v28, v24, s3
	v_dual_cndmask_b32 v20, v20, v27, vcc_lo :: v_dual_cndmask_b32 v21, v21, v29, s2
	s_delay_alu instid0(VALU_DEP_2) | instskip(SKIP_1) | instid1(VALU_DEP_3)
	v_subrev_nc_u32_e32 v27, s11, v24
	v_cmp_le_u32_e64 s3, s11, v24
	v_subrev_nc_u32_e32 v28, s11, v20
	v_cmp_le_u32_e32 vcc_lo, s11, v20
	v_add_nc_u32_e32 v3, 0x80, v3
	v_mad_u32 v21, v36, s26, v21
	s_delay_alu instid0(VALU_DEP_4) | instskip(SKIP_2) | instid1(VALU_DEP_3)
	v_cndmask_b32_e32 v20, v20, v28, vcc_lo
	v_mul_lo_u32 v25, v25, s11
	v_cndmask_b32_e64 v24, v24, v27, s3
	v_mad_u32 v20, v34, s26, v20
	s_delay_alu instid0(VALU_DEP_3) | instskip(NEXT) | instid1(VALU_DEP_3)
	v_sub_nc_u32_e32 v25, v6, v25
	v_mad_u32 v24, v35, s26, v24
	v_lshl_add_u32 v6, v37, 1, v6
	s_delay_alu instid0(VALU_DEP_3) | instskip(SKIP_1) | instid1(VALU_DEP_2)
	v_subrev_nc_u32_e32 v27, s11, v25
	v_cmp_le_u32_e32 vcc_lo, s11, v25
	v_dual_cndmask_b32 v25, v25, v27 :: v_dual_add_nc_u32 v2, 0x80, v2
	s_delay_alu instid0(VALU_DEP_1) | instskip(SKIP_1) | instid1(VALU_DEP_2)
	v_subrev_nc_u32_e32 v27, s11, v25
	v_cmp_le_u32_e32 vcc_lo, s11, v25
	v_cndmask_b32_e32 v25, v25, v27, vcc_lo
	s_delay_alu instid0(VALU_DEP_1)
	v_mad_u32 v25, v37, s26, v25
	s_clause 0x1
	global_store_b32 v31, v24, s[20:21] scale_offset
	global_store_b32 v31, v23, s[22:23] scale_offset
	s_clause 0x1
	global_store_b32 v30, v20, s[20:21] scale_offset
	global_store_b32 v30, v22, s[22:23] scale_offset
	;; [unrolled: 3-line block ×4, first 2 shown]
	s_wait_xcnt 0x0
	s_and_not1_b32 exec_lo, exec_lo, s12
	s_cbranch_execnz .LBB0_16
; %bb.17:
	s_or_b32 exec_lo, exec_lo, s12
	v_lshlrev_b32_e32 v4, 5, v19
.LBB0_18:
	s_or_b32 exec_lo, exec_lo, s10
	v_and_b32_e32 v1, 2, v16
	s_mov_b32 s2, exec_lo
	s_delay_alu instid0(VALU_DEP_1)
	v_cmpx_eq_u32_e32 0, v1
	s_cbranch_execz .LBB0_20
; %bb.19:
	v_add_nc_u32_e32 v1, v0, v4
	s_wait_kmcnt 0x0
	s_abs_i32 s3, s24
	v_add_nc_u32_e32 v3, v3, v9
	s_cvt_f32_u32 s4, s3
	s_sub_co_i32 s5, 0, s3
	v_lshl_add_u32 v1, v1, 2, 0
	v_add_nc_u32_e32 v2, v2, v9
	v_rcp_iflag_f32_e32 v4, s4
	ds_load_2addr_b32 v[6:7], v1 offset1:32
	v_nop
	v_readfirstlane_b32 s4, v4
	s_mul_f32 s4, s4, 0x4f7ffffe
	s_delay_alu instid0(SALU_CYCLE_3) | instskip(NEXT) | instid1(SALU_CYCLE_3)
	s_cvt_u32_f32 s4, s4
	s_mul_i32 s5, s5, s4
	s_delay_alu instid0(SALU_CYCLE_1) | instskip(SKIP_4) | instid1(VALU_DEP_2)
	s_mul_hi_u32 s5, s4, s5
	s_wait_dscnt 0x0
	v_lshrrev_b32_e32 v4, 22, v7
	s_add_co_i32 s4, s4, s5
	v_and_b32_e32 v7, 0x3fffff, v7
	v_mul_hi_u32 v17, v4, s4
	s_delay_alu instid0(VALU_DEP_1) | instskip(SKIP_2) | instid1(VALU_DEP_3)
	v_mul_lo_u32 v17, v17, s3
	v_lshrrev_b32_e32 v1, 22, v6
	v_and_b32_e32 v6, 0x3fffff, v6
	v_sub_nc_u32_e32 v17, v4, v17
	s_delay_alu instid0(VALU_DEP_3) | instskip(SKIP_1) | instid1(VALU_DEP_3)
	v_mul_hi_u32 v16, v1, s4
	v_lshl_add_u32 v4, v7, 1, v4
	v_subrev_nc_u32_e32 v19, s3, v17
	s_delay_alu instid0(VALU_DEP_3) | instskip(NEXT) | instid1(VALU_DEP_1)
	v_mul_lo_u32 v16, v16, s3
	v_sub_nc_u32_e32 v16, v1, v16
	v_lshl_add_u32 v1, v6, 1, v1
	s_delay_alu instid0(VALU_DEP_2) | instskip(SKIP_1) | instid1(VALU_DEP_2)
	v_subrev_nc_u32_e32 v18, s3, v16
	v_cmp_le_u32_e32 vcc_lo, s3, v16
	v_cndmask_b32_e32 v16, v16, v18, vcc_lo
	v_cmp_le_u32_e32 vcc_lo, s3, v17
	v_cndmask_b32_e32 v17, v17, v19, vcc_lo
	s_delay_alu instid0(VALU_DEP_3) | instskip(SKIP_1) | instid1(VALU_DEP_3)
	v_subrev_nc_u32_e32 v18, s3, v16
	v_cmp_le_u32_e32 vcc_lo, s3, v16
	v_subrev_nc_u32_e32 v19, s3, v17
	s_delay_alu instid0(VALU_DEP_3) | instskip(SKIP_1) | instid1(VALU_DEP_3)
	v_cndmask_b32_e32 v16, v16, v18, vcc_lo
	v_cmp_le_u32_e32 vcc_lo, s3, v17
	v_cndmask_b32_e32 v17, v17, v19, vcc_lo
	s_delay_alu instid0(VALU_DEP_3) | instskip(NEXT) | instid1(VALU_DEP_2)
	v_mad_u32 v16, v6, s26, v16
	v_mad_u32 v17, v7, s26, v17
	s_clause 0x1
	global_store_b32 v2, v16, s[20:21] scale_offset
	global_store_b32 v2, v1, s[22:23] scale_offset
	s_clause 0x1
	global_store_b32 v3, v17, s[20:21] scale_offset
	global_store_b32 v3, v4, s[22:23] scale_offset
.LBB0_20:
	s_wait_xcnt 0x0
	s_or_b32 exec_lo, exec_lo, s2
	v_add_nc_u32_e32 v1, 1, v15
	s_delay_alu instid0(VALU_DEP_1) | instskip(NEXT) | instid1(VALU_DEP_1)
	v_and_b32_e32 v2, 0xffffffe, v1
	v_cmp_ne_u32_e32 vcc_lo, v1, v2
	v_lshl_add_u32 v1, v2, 5, v0
	s_or_not1_b32 s2, vcc_lo, exec_lo
.LBB0_21:
	s_or_b32 exec_lo, exec_lo, s9
	s_delay_alu instid0(SALU_CYCLE_1) | instskip(SKIP_1) | instid1(SALU_CYCLE_1)
	s_and_not1_b32 s3, s7, exec_lo
	s_and_b32 s2, s2, exec_lo
	s_or_b32 s7, s3, s2
.LBB0_22:
	s_or_b32 exec_lo, exec_lo, s8
	s_delay_alu instid0(SALU_CYCLE_1)
	s_and_b32 exec_lo, exec_lo, s7
	s_cbranch_execz .LBB0_25
; %bb.23:
	s_wait_kmcnt 0x0
	s_abs_i32 s4, s24
	v_lshl_add_u32 v4, v1, 2, 0
	s_cvt_f32_u32 s2, s4
	s_sub_co_i32 s3, 0, s4
	v_mov_b32_e32 v3, 0
	s_delay_alu instid0(SALU_CYCLE_1) | instskip(SKIP_1) | instid1(TRANS32_DEP_1)
	v_rcp_iflag_f32_e32 v2, s2
	v_nop
	v_readfirstlane_b32 s2, v2
	v_add3_u32 v2, v10, v11, v12
	s_mul_f32 s2, s2, 0x4f7ffffe
	s_delay_alu instid0(VALU_DEP_1) | instskip(NEXT) | instid1(SALU_CYCLE_2)
	v_add3_u32 v2, v2, v13, v14
	s_cvt_u32_f32 s2, s2
	s_delay_alu instid0(VALU_DEP_1) | instskip(NEXT) | instid1(SALU_CYCLE_2)
	v_add3_u32 v6, v2, v1, v8
	s_mul_i32 s3, s3, s2
	s_delay_alu instid0(SALU_CYCLE_1)
	s_mul_hi_u32 s5, s2, s3
	s_mov_b32 s3, 0
	s_add_co_i32 s2, s2, s5
	s_mov_b32 s5, s3
.LBB0_24:                               ; =>This Inner Loop Header: Depth=1
	ds_load_b32 v7, v4
	v_add_nc_u32_e32 v4, 0x80, v4
	s_wait_dscnt 0x0
	v_dual_add_nc_u32 v1, 32, v1 :: v_dual_lshrrev_b32 v2, 22, v7
	v_and_b32_e32 v7, 0x3fffff, v7
	s_delay_alu instid0(VALU_DEP_2) | instskip(NEXT) | instid1(VALU_DEP_1)
	v_mul_u64_e32 v[10:11], s[2:3], v[2:3]
	v_mul_lo_u32 v8, v11, s4
	s_delay_alu instid0(VALU_DEP_1) | instskip(NEXT) | instid1(VALU_DEP_1)
	v_sub_nc_u32_e32 v8, v2, v8
	v_subrev_nc_u32_e32 v10, s4, v8
	v_cmp_le_u32_e32 vcc_lo, s4, v8
	s_delay_alu instid0(VALU_DEP_2) | instskip(SKIP_1) | instid1(VALU_DEP_2)
	v_cndmask_b32_e32 v8, v8, v10, vcc_lo
	v_lshl_add_u32 v2, v7, 1, v2
	v_subrev_nc_u32_e32 v10, s4, v8
	v_cmp_le_u32_e32 vcc_lo, s4, v8
	s_delay_alu instid0(VALU_DEP_2) | instskip(SKIP_1) | instid1(VALU_DEP_2)
	v_cndmask_b32_e32 v8, v8, v10, vcc_lo
	v_cmp_ge_i32_e32 vcc_lo, v1, v5
	v_mad_u32 v8, v7, s26, v8
	s_or_b32 s5, vcc_lo, s5
	s_clause 0x1
	global_store_b32 v6, v8, s[20:21] scale_offset
	global_store_b32 v6, v2, s[22:23] scale_offset
	s_wait_xcnt 0x0
	v_add_nc_u32_e32 v6, 32, v6
	s_and_not1_b32 exec_lo, exec_lo, s5
	s_cbranch_execnz .LBB0_24
.LBB0_25:
	s_or_b32 exec_lo, exec_lo, s6
	s_delay_alu instid0(SALU_CYCLE_1)
	s_mov_b32 s2, exec_lo
	v_cmpx_eq_u32_e32 0, v0
	s_cbranch_execz .LBB0_28
; %bb.26:
	s_wait_xcnt 0x0
	s_load_b32 s0, s[0:1], 0x38
	v_mov_b32_e32 v0, s27
	s_wait_kmcnt 0x0
	global_store_b32 v0, v9, s[18:19] scale_offset
	s_add_co_i32 s1, s0, -1
	s_delay_alu instid0(SALU_CYCLE_1)
	s_cmp_lt_i32 s27, s1
	s_cbranch_scc1 .LBB0_28
; %bb.27:
	s_wait_xcnt 0x0
	v_dual_mov_b32 v1, s0 :: v_dual_add_nc_u32 v0, v9, v5
	global_store_b32 v1, v0, s[18:19] scale_offset
.LBB0_28:
	s_endpgm
	.section	.rodata,"a",@progbits
	.p2align	6, 0x0
	.amdhsa_kernel _ZL13mm_ids_helperILi2EEvPKiPiS2_S2_iiiii
		.amdhsa_group_segment_fixed_size 0
		.amdhsa_private_segment_fixed_size 0
		.amdhsa_kernarg_size 312
		.amdhsa_user_sgpr_count 2
		.amdhsa_user_sgpr_dispatch_ptr 0
		.amdhsa_user_sgpr_queue_ptr 0
		.amdhsa_user_sgpr_kernarg_segment_ptr 1
		.amdhsa_user_sgpr_dispatch_id 0
		.amdhsa_user_sgpr_kernarg_preload_length 0
		.amdhsa_user_sgpr_kernarg_preload_offset 0
		.amdhsa_user_sgpr_private_segment_size 0
		.amdhsa_wavefront_size32 1
		.amdhsa_uses_dynamic_stack 0
		.amdhsa_enable_private_segment 0
		.amdhsa_system_sgpr_workgroup_id_x 1
		.amdhsa_system_sgpr_workgroup_id_y 0
		.amdhsa_system_sgpr_workgroup_id_z 0
		.amdhsa_system_sgpr_workgroup_info 0
		.amdhsa_system_vgpr_workitem_id 0
		.amdhsa_next_free_vgpr 43
		.amdhsa_next_free_sgpr 31
		.amdhsa_named_barrier_count 0
		.amdhsa_reserve_vcc 1
		.amdhsa_float_round_mode_32 0
		.amdhsa_float_round_mode_16_64 0
		.amdhsa_float_denorm_mode_32 3
		.amdhsa_float_denorm_mode_16_64 3
		.amdhsa_fp16_overflow 0
		.amdhsa_memory_ordered 1
		.amdhsa_forward_progress 1
		.amdhsa_inst_pref_size 25
		.amdhsa_round_robin_scheduling 0
		.amdhsa_exception_fp_ieee_invalid_op 0
		.amdhsa_exception_fp_denorm_src 0
		.amdhsa_exception_fp_ieee_div_zero 0
		.amdhsa_exception_fp_ieee_overflow 0
		.amdhsa_exception_fp_ieee_underflow 0
		.amdhsa_exception_fp_ieee_inexact 0
		.amdhsa_exception_int_div_zero 0
	.end_amdhsa_kernel
	.section	.text._ZL13mm_ids_helperILi2EEvPKiPiS2_S2_iiiii,"axG",@progbits,_ZL13mm_ids_helperILi2EEvPKiPiS2_S2_iiiii,comdat
.Lfunc_end0:
	.size	_ZL13mm_ids_helperILi2EEvPKiPiS2_S2_iiiii, .Lfunc_end0-_ZL13mm_ids_helperILi2EEvPKiPiS2_S2_iiiii
                                        ; -- End function
	.set _ZL13mm_ids_helperILi2EEvPKiPiS2_S2_iiiii.num_vgpr, 43
	.set _ZL13mm_ids_helperILi2EEvPKiPiS2_S2_iiiii.num_agpr, 0
	.set _ZL13mm_ids_helperILi2EEvPKiPiS2_S2_iiiii.numbered_sgpr, 31
	.set _ZL13mm_ids_helperILi2EEvPKiPiS2_S2_iiiii.num_named_barrier, 0
	.set _ZL13mm_ids_helperILi2EEvPKiPiS2_S2_iiiii.private_seg_size, 0
	.set _ZL13mm_ids_helperILi2EEvPKiPiS2_S2_iiiii.uses_vcc, 1
	.set _ZL13mm_ids_helperILi2EEvPKiPiS2_S2_iiiii.uses_flat_scratch, 0
	.set _ZL13mm_ids_helperILi2EEvPKiPiS2_S2_iiiii.has_dyn_sized_stack, 0
	.set _ZL13mm_ids_helperILi2EEvPKiPiS2_S2_iiiii.has_recursion, 0
	.set _ZL13mm_ids_helperILi2EEvPKiPiS2_S2_iiiii.has_indirect_call, 0
	.section	.AMDGPU.csdata,"",@progbits
; Kernel info:
; codeLenInByte = 3096
; TotalNumSgprs: 33
; NumVgprs: 43
; ScratchSize: 0
; MemoryBound: 0
; FloatMode: 240
; IeeeMode: 1
; LDSByteSize: 0 bytes/workgroup (compile time only)
; SGPRBlocks: 0
; VGPRBlocks: 2
; NumSGPRsForWavesPerEU: 33
; NumVGPRsForWavesPerEU: 43
; NamedBarCnt: 0
; Occupancy: 16
; WaveLimiterHint : 0
; COMPUTE_PGM_RSRC2:SCRATCH_EN: 0
; COMPUTE_PGM_RSRC2:USER_SGPR: 2
; COMPUTE_PGM_RSRC2:TRAP_HANDLER: 0
; COMPUTE_PGM_RSRC2:TGID_X_EN: 1
; COMPUTE_PGM_RSRC2:TGID_Y_EN: 0
; COMPUTE_PGM_RSRC2:TGID_Z_EN: 0
; COMPUTE_PGM_RSRC2:TIDIG_COMP_CNT: 0
	.section	.text._ZL13mm_ids_helperILi4EEvPKiPiS2_S2_iiiii,"axG",@progbits,_ZL13mm_ids_helperILi4EEvPKiPiS2_S2_iiiii,comdat
	.globl	_ZL13mm_ids_helperILi4EEvPKiPiS2_S2_iiiii ; -- Begin function _ZL13mm_ids_helperILi4EEvPKiPiS2_S2_iiiii
	.p2align	8
	.type	_ZL13mm_ids_helperILi4EEvPKiPiS2_S2_iiiii,@function
_ZL13mm_ids_helperILi4EEvPKiPiS2_S2_iiiii: ; @_ZL13mm_ids_helperILi4EEvPKiPiS2_S2_iiiii
; %bb.0:
	s_load_b32 s22, s[0:1], 0x20
	s_bfe_u32 s2, ttmp6, 0x4000c
	s_and_b32 s3, ttmp6, 15
	s_add_co_i32 s2, s2, 1
	s_getreg_b32 s4, hwreg(HW_REG_IB_STS2, 6, 4)
	s_mul_i32 s2, ttmp9, s2
	v_mbcnt_lo_u32_b32 v3, -1, 0
	s_add_co_i32 s3, s3, s2
	s_cmp_eq_u32 s4, 0
	s_mov_b32 s2, 0
	s_cselect_b32 s19, ttmp9, s3
	s_wait_kmcnt 0x0
	s_cmp_gt_i32 s22, 0
	s_cbranch_scc1 .LBB1_2
; %bb.1:
	v_mbcnt_lo_u32_b32 v6, -1, 0
	s_delay_alu instid0(VALU_DEP_1)
	v_dual_mov_b32 v4, 0 :: v_dual_bitop2_b32 v1, 2, v6 bitop3:0x14
	v_xor_b32_e32 v2, 1, v6
	s_branch .LBB1_3
.LBB1_2:
	s_mov_b32 s2, -1
                                        ; implicit-def: $vgpr6
                                        ; implicit-def: $vgpr4
                                        ; implicit-def: $vgpr1
                                        ; implicit-def: $vgpr2
.LBB1_3:
	s_clause 0x2
	s_load_b128 s[12:15], s[0:1], 0x8
	s_load_b64 s[10:11], s[0:1], 0x18
	s_load_b96 s[16:18], s[0:1], 0x28
	v_dual_mov_b32 v8, 0 :: v_dual_mov_b32 v5, 0
	s_and_not1_b32 vcc_lo, exec_lo, s2
	s_cbranch_vccnz .LBB1_11
; %bb.4:
	v_dual_lshrrev_b32 v6, 2, v0 :: v_dual_bitop2_b32 v2, 28, v3 bitop3:0x40
	v_xor_b32_e32 v1, 2, v3
	v_subrev_nc_u32_e32 v16, 20, v3
	s_load_b64 s[20:21], s[0:1], 0x0
	s_delay_alu instid0(VALU_DEP_3)
	v_add_nc_u32_e32 v4, 4, v2
	v_subrev_nc_u32_e32 v17, 28, v3
	v_cmp_gt_u32_e64 s2, 4, v0
	v_cmp_gt_u32_e64 s3, 8, v0
	;; [unrolled: 1-line block ×3, first 2 shown]
	v_cmp_lt_i32_e32 vcc_lo, v1, v4
	v_xor_b32_e32 v2, 1, v3
	v_cmp_gt_u32_e64 s5, 16, v0
	v_cmp_gt_u32_e64 s6, 20, v0
	;; [unrolled: 1-line block ×3, first 2 shown]
	v_cndmask_b32_e32 v7, v3, v1, vcc_lo
	v_cmp_lt_i32_e32 vcc_lo, v2, v4
	v_dual_mov_b32 v4, 0 :: v_dual_add_nc_u32 v11, -4, v3
	v_and_b32_e32 v5, 3, v0
	v_cmp_gt_u32_e64 s8, 28, v0
	v_dual_cndmask_b32 v8, v3, v2, vcc_lo :: v_dual_add_nc_u32 v12, -8, v3
	s_delay_alu instid0(VALU_DEP_4)
	v_cmp_gt_i32_e32 vcc_lo, 0, v11
	s_wait_kmcnt 0x0
	v_mad_u32 v18, s17, v6, v5
	v_dual_lshlrev_b32 v7, 2, v7 :: v_dual_lshlrev_b32 v10, 22, v5
	v_dual_cndmask_b32 v8, v11, v3 :: v_dual_lshlrev_b32 v9, 2, v8
	v_mov_b32_e32 v11, 0x7c
	v_cmp_gt_i32_e32 vcc_lo, 0, v12
	v_dual_mov_b32 v5, 0 :: v_dual_add_nc_u32 v14, -12, v3
	v_mov_b32_e32 v20, 0
	s_lshl_b32 s17, s17, 3
	v_dual_cndmask_b32 v13, v12, v3 :: v_dual_lshlrev_b32 v12, 2, v8
	v_add_nc_u32_e32 v8, -16, v3
	v_cmp_gt_i32_e32 vcc_lo, 0, v14
	s_delay_alu instid0(VALU_DEP_3) | instskip(NEXT) | instid1(VALU_DEP_3)
	v_dual_cndmask_b32 v14, v14, v3 :: v_dual_lshlrev_b32 v13, 2, v13
	v_cmp_gt_i32_e32 vcc_lo, 0, v8
	s_delay_alu instid0(VALU_DEP_2) | instskip(SKIP_1) | instid1(VALU_DEP_2)
	v_dual_lshlrev_b32 v14, 2, v14 :: v_dual_cndmask_b32 v8, v8, v3, vcc_lo
	v_cmp_gt_i32_e32 vcc_lo, 0, v16
	v_dual_cndmask_b32 v16, v16, v3 :: v_dual_lshlrev_b32 v15, 2, v8
	v_subrev_nc_u32_e32 v8, 24, v3
	s_delay_alu instid0(VALU_DEP_2) | instskip(NEXT) | instid1(VALU_DEP_2)
	v_lshlrev_b32_e32 v16, 2, v16
	v_cmp_gt_i32_e32 vcc_lo, 0, v8
	v_cndmask_b32_e32 v8, v8, v3, vcc_lo
	v_cmp_gt_i32_e32 vcc_lo, 0, v17
	s_delay_alu instid0(VALU_DEP_2) | instskip(NEXT) | instid1(VALU_DEP_1)
	v_dual_cndmask_b32 v19, v17, v3, vcc_lo :: v_dual_lshlrev_b32 v17, 2, v8
	v_dual_mov_b32 v8, 0 :: v_dual_lshlrev_b32 v19, 2, v19
	s_branch .LBB1_6
.LBB1_5:                                ;   in Loop: Header=BB1_6 Depth=1
	s_or_b32 exec_lo, exec_lo, s9
	s_delay_alu instid0(VALU_DEP_1)
	v_dual_add_nc_u32 v22, v24, v23 :: v_dual_add_nc_u32 v20, 8, v20
	v_cmp_gt_i32_e64 s9, s19, v21
	v_add_nc_u32_e32 v18, s17, v18
	ds_bpermute_b32 v22, v11, v22
	v_cmp_le_i32_e32 vcc_lo, s22, v20
	v_add_co_ci_u32_e64 v8, null, 0, v8, s9
	s_wait_dscnt 0x0
	v_add_nc_u32_e32 v5, v22, v5
	s_cbranch_vccnz .LBB1_10
.LBB1_6:                                ; =>This Inner Loop Header: Depth=1
	v_add_nc_u32_e32 v22, v6, v20
	v_bfrev_b32_e32 v21, -2
	s_mov_b32 s9, exec_lo
	s_delay_alu instid0(VALU_DEP_2)
	v_cmpx_gt_i32_e64 s22, v22
	s_cbranch_execz .LBB1_8
; %bb.7:                                ;   in Loop: Header=BB1_6 Depth=1
	global_load_b32 v21, v18, s[20:21] scale_offset
.LBB1_8:                                ;   in Loop: Header=BB1_6 Depth=1
	s_wait_xcnt 0x0
	s_or_b32 exec_lo, exec_lo, s9
	s_wait_loadcnt 0x0
	v_cmp_eq_u32_e32 vcc_lo, s19, v21
	v_cndmask_b32_e64 v23, 0, 1, vcc_lo
	ds_bpermute_b32 v24, v7, v23
	s_wait_dscnt 0x0
	v_or_b32_e32 v23, v24, v23
	s_delay_alu instid0(VALU_DEP_1) | instskip(NEXT) | instid1(VALU_DEP_1)
	v_cmp_ne_u32_e64 s9, 0, v23
	v_cndmask_b32_e64 v24, 0, 1, s9
	ds_bpermute_b32 v24, v9, v24
	s_wait_dscnt 0x0
	v_or_b32_e32 v23, v24, v23
	s_delay_alu instid0(VALU_DEP_1) | instskip(NEXT) | instid1(VALU_DEP_1)
	v_cmp_ne_u32_e64 s9, 0, v23
	v_cndmask_b32_e64 v23, 0, 1, s9
	ds_bpermute_b32 v24, v12, v23
	ds_bpermute_b32 v25, v13, v23
	;; [unrolled: 1-line block ×7, first 2 shown]
	s_wait_dscnt 0x6
	v_cndmask_b32_e64 v24, v24, 0, s2
	s_wait_dscnt 0x5
	v_cndmask_b32_e64 v25, v25, 0, s3
	;; [unrolled: 2-line block ×5, first 2 shown]
	v_add3_u32 v24, v25, v24, v26
	s_wait_dscnt 0x1
	v_cndmask_b32_e64 v25, v29, 0, s7
	s_wait_dscnt 0x0
	v_cndmask_b32_e64 v26, v30, 0, s8
	v_add3_u32 v24, v27, v24, v28
	s_delay_alu instid0(VALU_DEP_1)
	v_add3_u32 v24, v25, v24, v26
	s_and_saveexec_b32 s9, vcc_lo
	s_cbranch_execz .LBB1_5
; %bb.9:                                ;   in Loop: Header=BB1_6 Depth=1
	s_delay_alu instid0(VALU_DEP_1) | instskip(SKIP_1) | instid1(VALU_DEP_2)
	v_dual_lshlrev_b32 v25, 2, v5 :: v_dual_lshlrev_b32 v26, 2, v24
	v_and_or_b32 v22, 0x3fffff, v22, v10
	v_add3_u32 v25, 0, v25, v26
	ds_store_b32 v25, v22
	s_branch .LBB1_5
.LBB1_10:
	v_mov_b32_e32 v6, v3
.LBB1_11:
	s_delay_alu instid0(VALU_DEP_1) | instskip(SKIP_1) | instid1(VALU_DEP_1)
	v_dual_add_nc_u32 v3, 32, v4 :: v_dual_bitop2_b32 v4, 16, v6 bitop3:0x14
	s_mov_b32 s6, exec_lo
	v_cmp_lt_i32_e32 vcc_lo, v4, v3
	v_cndmask_b32_e32 v4, v6, v4, vcc_lo
	s_delay_alu instid0(VALU_DEP_1) | instskip(SKIP_3) | instid1(VALU_DEP_1)
	v_lshlrev_b32_e32 v4, 2, v4
	ds_bpermute_b32 v10, v4, v8
	s_wait_dscnt 0x0
	v_dual_add_nc_u32 v7, v10, v8 :: v_dual_bitop2_b32 v4, 8, v6 bitop3:0x14
	v_cmp_lt_i32_e32 vcc_lo, v4, v3
	v_cndmask_b32_e32 v4, v6, v4, vcc_lo
	s_delay_alu instid0(VALU_DEP_1) | instskip(SKIP_2) | instid1(VALU_DEP_1)
	v_lshlrev_b32_e32 v4, 2, v4
	ds_bpermute_b32 v11, v4, v7
	v_xor_b32_e32 v4, 4, v6
	v_cmp_lt_i32_e32 vcc_lo, v4, v3
	v_cndmask_b32_e32 v4, v6, v4, vcc_lo
	v_cmp_lt_i32_e32 vcc_lo, v1, v3
	s_delay_alu instid0(VALU_DEP_2) | instskip(SKIP_2) | instid1(VALU_DEP_2)
	v_dual_cndmask_b32 v1, v6, v1 :: v_dual_lshlrev_b32 v4, 2, v4
	v_cmp_lt_i32_e32 vcc_lo, v2, v3
	s_wait_dscnt 0x0
	v_dual_add_nc_u32 v7, v11, v7 :: v_dual_lshlrev_b32 v1, 2, v1
	ds_bpermute_b32 v12, v4, v7
	s_wait_dscnt 0x0
	v_add_nc_u32_e32 v4, v12, v7
	ds_bpermute_b32 v13, v1, v4
	v_cndmask_b32_e32 v1, v6, v2, vcc_lo
	s_wait_dscnt 0x0
	s_delay_alu instid0(VALU_DEP_1)
	v_dual_lshlrev_b32 v1, 2, v1 :: v_dual_add_nc_u32 v2, v13, v4
	ds_bpermute_b32 v14, v1, v2
	s_wait_dscnt 0x0
	v_add_nc_u32_e32 v9, v14, v2
	v_cmpx_lt_i32_e64 v0, v5
	s_cbranch_execz .LBB1_25
; %bb.12:
	v_xad_u32 v2, v0, -1, v5
	v_mov_b32_e32 v1, v0
	s_mov_b32 s2, -1
	s_mov_b32 s8, exec_lo
	s_delay_alu instid0(VALU_DEP_2)
	v_cmp_gt_u32_e64 s7, 0x1a0, v2
	v_cmpx_lt_u32_e32 0x19f, v2
	s_cbranch_execz .LBB1_22
; %bb.13:
	v_and_b32_e32 v1, 0xffffffe0, v2
	v_add_nc_u32_e32 v3, v9, v0
	s_delay_alu instid0(VALU_DEP_1) | instskip(NEXT) | instid1(VALU_DEP_1)
	v_add_nc_u32_e32 v1, v3, v1
	v_cmp_ge_i32_e32 vcc_lo, v1, v3
	v_mov_b32_e32 v1, v0
	s_and_saveexec_b32 s9, vcc_lo
	s_cbranch_execz .LBB1_21
; %bb.14:
	v_dual_lshrrev_b32 v15, 5, v2 :: v_dual_add_nc_u32 v1, 32, v0
	s_wait_kmcnt 0x0
	s_mov_b32 s17, exec_lo
	s_delay_alu instid0(VALU_DEP_1) | instskip(NEXT) | instid1(VALU_DEP_2)
	v_dual_mov_b32 v4, 0 :: v_dual_add_nc_u32 v16, -1, v15
	v_mov_b64_e32 v[2:3], v[0:1]
	s_delay_alu instid0(VALU_DEP_2)
	v_cmpx_lt_u32_e32 1, v16
	s_cbranch_execz .LBB1_18
; %bb.15:
	s_abs_i32 s20, s16
	v_lshl_add_u32 v17, v0, 2, 0
	s_cvt_f32_u32 s2, s20
	s_sub_co_i32 s3, 0, s20
	s_mov_b32 s5, 0
	v_add_nc_u32_e32 v4, 64, v9
	v_rcp_iflag_f32_e32 v2, s2
	s_mov_b32 s21, s5
	s_mov_b32 s22, s5
	v_nop
	s_delay_alu instid0(TRANS32_DEP_1) | instskip(SKIP_2) | instid1(VALU_DEP_1)
	v_readfirstlane_b32 s2, v2
	v_dual_mov_b32 v7, 0 :: v_dual_lshrrev_b32 v2, 1, v16
	s_mul_f32 s2, s2, 0x4f7ffffe
	v_add_nc_u32_e32 v6, 1, v2
	v_mov_b64_e32 v[2:3], v[0:1]
	v_mov_b32_e32 v1, v4
	s_cvt_u32_f32 s2, s2
	s_delay_alu instid0(VALU_DEP_3) | instskip(NEXT) | instid1(SALU_CYCLE_2)
	v_and_b32_e32 v18, -2, v6
	s_mul_i32 s3, s3, s2
	s_delay_alu instid0(SALU_CYCLE_1) | instskip(NEXT) | instid1(SALU_CYCLE_1)
	s_mul_hi_u32 s3, s2, s3
	s_add_co_i32 s4, s2, s3
.LBB1_16:                               ; =>This Inner Loop Header: Depth=1
	ds_load_2addr_b32 v[20:21], v17 offset1:32
	ds_load_2addr_b32 v[24:25], v17 offset0:64 offset1:96
	v_dual_mov_b32 v23, v7 :: v_dual_add_nc_u32 v31, v2, v9
	v_dual_mov_b32 v27, v7 :: v_dual_add_nc_u32 v18, -2, v18
	s_add_co_i32 s22, s22, 4
	v_dual_add_nc_u32 v30, v3, v9 :: v_dual_add_nc_u32 v33, v2, v4
	v_dual_mov_b32 v19, s22 :: v_dual_add_nc_u32 v32, v3, v1
	s_delay_alu instid0(VALU_DEP_3)
	v_cmp_eq_u32_e32 vcc_lo, 0, v18
	s_or_b32 s21, vcc_lo, s21
	s_wait_dscnt 0x1
	v_dual_lshrrev_b32 v6, 22, v20 :: v_dual_lshrrev_b32 v22, 22, v21
	v_and_b32_e32 v34, 0x3fffff, v21
	v_and_b32_e32 v35, 0x3fffff, v20
	s_wait_dscnt 0x0
	v_and_b32_e32 v36, 0x3fffff, v25
	v_mul_u64_e32 v[20:21], s[4:5], v[6:7]
	v_mul_u64_e32 v[28:29], s[4:5], v[22:23]
	v_and_b32_e32 v37, 0x3fffff, v24
	v_lshl_add_u32 v23, v35, 2, v6
	s_delay_alu instid0(VALU_DEP_4) | instskip(NEXT) | instid1(VALU_DEP_1)
	v_mul_lo_u32 v20, v21, s20
	v_dual_lshrrev_b32 v26, 22, v25 :: v_dual_sub_nc_u32 v28, v6, v20
	s_delay_alu instid0(VALU_DEP_1) | instskip(SKIP_1) | instid1(VALU_DEP_3)
	v_mul_u64_e32 v[20:21], s[4:5], v[26:27]
	v_mul_lo_u32 v20, v29, s20
	v_cmp_le_u32_e64 s3, s20, v28
	s_delay_alu instid0(VALU_DEP_3) | instskip(NEXT) | instid1(VALU_DEP_1)
	v_mul_lo_u32 v21, v21, s20
	v_dual_lshrrev_b32 v6, 22, v24 :: v_dual_sub_nc_u32 v21, v26, v21
	s_delay_alu instid0(VALU_DEP_1) | instskip(SKIP_2) | instid1(VALU_DEP_4)
	v_mul_u64_e32 v[24:25], s[4:5], v[6:7]
	v_subrev_nc_u32_e32 v24, s20, v28
	v_lshl_add_u32 v26, v36, 2, v26
	v_subrev_nc_u32_e32 v29, s20, v21
	v_cmp_le_u32_e64 s2, s20, v21
	v_sub_nc_u32_e32 v20, v22, v20
	v_lshl_add_u32 v22, v34, 2, v22
	s_delay_alu instid0(VALU_DEP_3) | instskip(NEXT) | instid1(VALU_DEP_3)
	v_cndmask_b32_e64 v21, v21, v29, s2
	v_subrev_nc_u32_e32 v27, s20, v20
	v_cmp_le_u32_e32 vcc_lo, s20, v20
	v_add_nc_u32_e32 v17, 0x200, v17
	s_delay_alu instid0(VALU_DEP_4) | instskip(SKIP_2) | instid1(VALU_DEP_2)
	v_subrev_nc_u32_e32 v29, s20, v21
	v_cmp_le_u32_e64 s2, s20, v21
	v_cndmask_b32_e64 v24, v28, v24, s3
	v_dual_cndmask_b32 v20, v20, v27, vcc_lo :: v_dual_cndmask_b32 v21, v21, v29, s2
	s_delay_alu instid0(VALU_DEP_2) | instskip(SKIP_1) | instid1(VALU_DEP_3)
	v_subrev_nc_u32_e32 v27, s20, v24
	v_cmp_le_u32_e64 s3, s20, v24
	v_subrev_nc_u32_e32 v28, s20, v20
	v_cmp_le_u32_e32 vcc_lo, s20, v20
	v_add_nc_u32_e32 v3, 0x80, v3
	v_mad_u32 v21, v36, s18, v21
	s_delay_alu instid0(VALU_DEP_4) | instskip(SKIP_2) | instid1(VALU_DEP_3)
	v_cndmask_b32_e32 v20, v20, v28, vcc_lo
	v_mul_lo_u32 v25, v25, s20
	v_cndmask_b32_e64 v24, v24, v27, s3
	v_mad_u32 v20, v34, s18, v20
	s_delay_alu instid0(VALU_DEP_3) | instskip(NEXT) | instid1(VALU_DEP_3)
	v_sub_nc_u32_e32 v25, v6, v25
	v_mad_u32 v24, v35, s18, v24
	v_lshl_add_u32 v6, v37, 2, v6
	s_delay_alu instid0(VALU_DEP_3) | instskip(SKIP_1) | instid1(VALU_DEP_2)
	v_subrev_nc_u32_e32 v27, s20, v25
	v_cmp_le_u32_e32 vcc_lo, s20, v25
	v_dual_cndmask_b32 v25, v25, v27 :: v_dual_add_nc_u32 v2, 0x80, v2
	s_delay_alu instid0(VALU_DEP_1) | instskip(SKIP_1) | instid1(VALU_DEP_2)
	v_subrev_nc_u32_e32 v27, s20, v25
	v_cmp_le_u32_e32 vcc_lo, s20, v25
	v_cndmask_b32_e32 v25, v25, v27, vcc_lo
	s_delay_alu instid0(VALU_DEP_1)
	v_mad_u32 v25, v37, s18, v25
	s_clause 0x1
	global_store_b32 v31, v24, s[12:13] scale_offset
	global_store_b32 v31, v23, s[14:15] scale_offset
	s_clause 0x1
	global_store_b32 v30, v20, s[12:13] scale_offset
	global_store_b32 v30, v22, s[14:15] scale_offset
	;; [unrolled: 3-line block ×4, first 2 shown]
	s_wait_xcnt 0x0
	s_and_not1_b32 exec_lo, exec_lo, s21
	s_cbranch_execnz .LBB1_16
; %bb.17:
	s_or_b32 exec_lo, exec_lo, s21
	v_lshlrev_b32_e32 v4, 5, v19
.LBB1_18:
	s_or_b32 exec_lo, exec_lo, s17
	v_and_b32_e32 v1, 2, v16
	s_mov_b32 s2, exec_lo
	s_delay_alu instid0(VALU_DEP_1)
	v_cmpx_eq_u32_e32 0, v1
	s_cbranch_execz .LBB1_20
; %bb.19:
	v_add_nc_u32_e32 v1, v0, v4
	s_abs_i32 s3, s16
	v_add_nc_u32_e32 v3, v3, v9
	s_cvt_f32_u32 s4, s3
	s_sub_co_i32 s5, 0, s3
	v_lshl_add_u32 v1, v1, 2, 0
	v_add_nc_u32_e32 v2, v2, v9
	v_rcp_iflag_f32_e32 v4, s4
	ds_load_2addr_b32 v[6:7], v1 offset1:32
	v_nop
	v_readfirstlane_b32 s4, v4
	s_mul_f32 s4, s4, 0x4f7ffffe
	s_delay_alu instid0(SALU_CYCLE_3) | instskip(NEXT) | instid1(SALU_CYCLE_3)
	s_cvt_u32_f32 s4, s4
	s_mul_i32 s5, s5, s4
	s_delay_alu instid0(SALU_CYCLE_1) | instskip(SKIP_4) | instid1(VALU_DEP_2)
	s_mul_hi_u32 s5, s4, s5
	s_wait_dscnt 0x0
	v_lshrrev_b32_e32 v4, 22, v7
	s_add_co_i32 s4, s4, s5
	v_and_b32_e32 v7, 0x3fffff, v7
	v_mul_hi_u32 v17, v4, s4
	s_delay_alu instid0(VALU_DEP_1) | instskip(SKIP_2) | instid1(VALU_DEP_3)
	v_mul_lo_u32 v17, v17, s3
	v_lshrrev_b32_e32 v1, 22, v6
	v_and_b32_e32 v6, 0x3fffff, v6
	v_sub_nc_u32_e32 v17, v4, v17
	s_delay_alu instid0(VALU_DEP_3) | instskip(SKIP_1) | instid1(VALU_DEP_3)
	v_mul_hi_u32 v16, v1, s4
	v_lshl_add_u32 v4, v7, 2, v4
	v_subrev_nc_u32_e32 v19, s3, v17
	s_delay_alu instid0(VALU_DEP_3) | instskip(NEXT) | instid1(VALU_DEP_1)
	v_mul_lo_u32 v16, v16, s3
	v_sub_nc_u32_e32 v16, v1, v16
	v_lshl_add_u32 v1, v6, 2, v1
	s_delay_alu instid0(VALU_DEP_2) | instskip(SKIP_1) | instid1(VALU_DEP_2)
	v_subrev_nc_u32_e32 v18, s3, v16
	v_cmp_le_u32_e32 vcc_lo, s3, v16
	v_cndmask_b32_e32 v16, v16, v18, vcc_lo
	v_cmp_le_u32_e32 vcc_lo, s3, v17
	v_cndmask_b32_e32 v17, v17, v19, vcc_lo
	s_delay_alu instid0(VALU_DEP_3) | instskip(SKIP_1) | instid1(VALU_DEP_3)
	v_subrev_nc_u32_e32 v18, s3, v16
	v_cmp_le_u32_e32 vcc_lo, s3, v16
	v_subrev_nc_u32_e32 v19, s3, v17
	s_delay_alu instid0(VALU_DEP_3) | instskip(SKIP_1) | instid1(VALU_DEP_3)
	v_cndmask_b32_e32 v16, v16, v18, vcc_lo
	v_cmp_le_u32_e32 vcc_lo, s3, v17
	v_cndmask_b32_e32 v17, v17, v19, vcc_lo
	s_delay_alu instid0(VALU_DEP_3) | instskip(NEXT) | instid1(VALU_DEP_2)
	v_mad_u32 v16, v6, s18, v16
	v_mad_u32 v17, v7, s18, v17
	s_clause 0x1
	global_store_b32 v2, v16, s[12:13] scale_offset
	global_store_b32 v2, v1, s[14:15] scale_offset
	s_clause 0x1
	global_store_b32 v3, v17, s[12:13] scale_offset
	global_store_b32 v3, v4, s[14:15] scale_offset
.LBB1_20:
	s_wait_xcnt 0x0
	s_or_b32 exec_lo, exec_lo, s2
	v_add_nc_u32_e32 v1, 1, v15
	s_delay_alu instid0(VALU_DEP_1) | instskip(NEXT) | instid1(VALU_DEP_1)
	v_and_b32_e32 v2, 0xffffffe, v1
	v_cmp_ne_u32_e32 vcc_lo, v1, v2
	v_lshl_add_u32 v1, v2, 5, v0
	s_or_not1_b32 s2, vcc_lo, exec_lo
.LBB1_21:
	s_or_b32 exec_lo, exec_lo, s9
	s_delay_alu instid0(SALU_CYCLE_1) | instskip(SKIP_1) | instid1(SALU_CYCLE_1)
	s_and_not1_b32 s3, s7, exec_lo
	s_and_b32 s2, s2, exec_lo
	s_or_b32 s7, s3, s2
.LBB1_22:
	s_or_b32 exec_lo, exec_lo, s8
	s_delay_alu instid0(SALU_CYCLE_1)
	s_and_b32 exec_lo, exec_lo, s7
	s_cbranch_execz .LBB1_25
; %bb.23:
	s_wait_kmcnt 0x0
	s_abs_i32 s4, s16
	v_lshl_add_u32 v4, v1, 2, 0
	s_cvt_f32_u32 s2, s4
	s_sub_co_i32 s3, 0, s4
	v_mov_b32_e32 v3, 0
	s_delay_alu instid0(SALU_CYCLE_1) | instskip(SKIP_1) | instid1(TRANS32_DEP_1)
	v_rcp_iflag_f32_e32 v2, s2
	v_nop
	v_readfirstlane_b32 s2, v2
	v_add3_u32 v2, v10, v11, v12
	s_mul_f32 s2, s2, 0x4f7ffffe
	s_delay_alu instid0(VALU_DEP_1) | instskip(NEXT) | instid1(SALU_CYCLE_2)
	v_add3_u32 v2, v2, v13, v14
	s_cvt_u32_f32 s2, s2
	s_delay_alu instid0(VALU_DEP_1) | instskip(NEXT) | instid1(SALU_CYCLE_2)
	v_add3_u32 v6, v2, v1, v8
	s_mul_i32 s3, s3, s2
	s_delay_alu instid0(SALU_CYCLE_1)
	s_mul_hi_u32 s5, s2, s3
	s_mov_b32 s3, 0
	s_add_co_i32 s2, s2, s5
	s_mov_b32 s5, s3
.LBB1_24:                               ; =>This Inner Loop Header: Depth=1
	ds_load_b32 v7, v4
	v_add_nc_u32_e32 v4, 0x80, v4
	s_wait_dscnt 0x0
	v_dual_add_nc_u32 v1, 32, v1 :: v_dual_lshrrev_b32 v2, 22, v7
	v_and_b32_e32 v7, 0x3fffff, v7
	s_delay_alu instid0(VALU_DEP_2) | instskip(NEXT) | instid1(VALU_DEP_1)
	v_mul_u64_e32 v[10:11], s[2:3], v[2:3]
	v_mul_lo_u32 v8, v11, s4
	s_delay_alu instid0(VALU_DEP_1) | instskip(NEXT) | instid1(VALU_DEP_1)
	v_sub_nc_u32_e32 v8, v2, v8
	v_subrev_nc_u32_e32 v10, s4, v8
	v_cmp_le_u32_e32 vcc_lo, s4, v8
	s_delay_alu instid0(VALU_DEP_2) | instskip(SKIP_1) | instid1(VALU_DEP_2)
	v_cndmask_b32_e32 v8, v8, v10, vcc_lo
	v_lshl_add_u32 v2, v7, 2, v2
	v_subrev_nc_u32_e32 v10, s4, v8
	v_cmp_le_u32_e32 vcc_lo, s4, v8
	s_delay_alu instid0(VALU_DEP_2) | instskip(SKIP_1) | instid1(VALU_DEP_2)
	v_cndmask_b32_e32 v8, v8, v10, vcc_lo
	v_cmp_ge_i32_e32 vcc_lo, v1, v5
	v_mad_u32 v8, v7, s18, v8
	s_or_b32 s5, vcc_lo, s5
	s_clause 0x1
	global_store_b32 v6, v8, s[12:13] scale_offset
	global_store_b32 v6, v2, s[14:15] scale_offset
	s_wait_xcnt 0x0
	v_add_nc_u32_e32 v6, 32, v6
	s_and_not1_b32 exec_lo, exec_lo, s5
	s_cbranch_execnz .LBB1_24
.LBB1_25:
	s_or_b32 exec_lo, exec_lo, s6
	s_delay_alu instid0(SALU_CYCLE_1)
	s_mov_b32 s2, exec_lo
	v_cmpx_eq_u32_e32 0, v0
	s_cbranch_execz .LBB1_28
; %bb.26:
	s_wait_xcnt 0x0
	s_load_b32 s0, s[0:1], 0x38
	v_mov_b32_e32 v0, s19
	s_wait_kmcnt 0x0
	global_store_b32 v0, v9, s[10:11] scale_offset
	s_add_co_i32 s1, s0, -1
	s_delay_alu instid0(SALU_CYCLE_1)
	s_cmp_lt_i32 s19, s1
	s_cbranch_scc1 .LBB1_28
; %bb.27:
	s_wait_xcnt 0x0
	v_dual_mov_b32 v1, s0 :: v_dual_add_nc_u32 v0, v9, v5
	global_store_b32 v1, v0, s[10:11] scale_offset
.LBB1_28:
	s_endpgm
	.section	.rodata,"a",@progbits
	.p2align	6, 0x0
	.amdhsa_kernel _ZL13mm_ids_helperILi4EEvPKiPiS2_S2_iiiii
		.amdhsa_group_segment_fixed_size 0
		.amdhsa_private_segment_fixed_size 0
		.amdhsa_kernarg_size 312
		.amdhsa_user_sgpr_count 2
		.amdhsa_user_sgpr_dispatch_ptr 0
		.amdhsa_user_sgpr_queue_ptr 0
		.amdhsa_user_sgpr_kernarg_segment_ptr 1
		.amdhsa_user_sgpr_dispatch_id 0
		.amdhsa_user_sgpr_kernarg_preload_length 0
		.amdhsa_user_sgpr_kernarg_preload_offset 0
		.amdhsa_user_sgpr_private_segment_size 0
		.amdhsa_wavefront_size32 1
		.amdhsa_uses_dynamic_stack 0
		.amdhsa_enable_private_segment 0
		.amdhsa_system_sgpr_workgroup_id_x 1
		.amdhsa_system_sgpr_workgroup_id_y 0
		.amdhsa_system_sgpr_workgroup_id_z 0
		.amdhsa_system_sgpr_workgroup_info 0
		.amdhsa_system_vgpr_workitem_id 0
		.amdhsa_next_free_vgpr 38
		.amdhsa_next_free_sgpr 23
		.amdhsa_named_barrier_count 0
		.amdhsa_reserve_vcc 1
		.amdhsa_float_round_mode_32 0
		.amdhsa_float_round_mode_16_64 0
		.amdhsa_float_denorm_mode_32 3
		.amdhsa_float_denorm_mode_16_64 3
		.amdhsa_fp16_overflow 0
		.amdhsa_memory_ordered 1
		.amdhsa_forward_progress 1
		.amdhsa_inst_pref_size 22
		.amdhsa_round_robin_scheduling 0
		.amdhsa_exception_fp_ieee_invalid_op 0
		.amdhsa_exception_fp_denorm_src 0
		.amdhsa_exception_fp_ieee_div_zero 0
		.amdhsa_exception_fp_ieee_overflow 0
		.amdhsa_exception_fp_ieee_underflow 0
		.amdhsa_exception_fp_ieee_inexact 0
		.amdhsa_exception_int_div_zero 0
	.end_amdhsa_kernel
	.section	.text._ZL13mm_ids_helperILi4EEvPKiPiS2_S2_iiiii,"axG",@progbits,_ZL13mm_ids_helperILi4EEvPKiPiS2_S2_iiiii,comdat
.Lfunc_end1:
	.size	_ZL13mm_ids_helperILi4EEvPKiPiS2_S2_iiiii, .Lfunc_end1-_ZL13mm_ids_helperILi4EEvPKiPiS2_S2_iiiii
                                        ; -- End function
	.set _ZL13mm_ids_helperILi4EEvPKiPiS2_S2_iiiii.num_vgpr, 38
	.set _ZL13mm_ids_helperILi4EEvPKiPiS2_S2_iiiii.num_agpr, 0
	.set _ZL13mm_ids_helperILi4EEvPKiPiS2_S2_iiiii.numbered_sgpr, 23
	.set _ZL13mm_ids_helperILi4EEvPKiPiS2_S2_iiiii.num_named_barrier, 0
	.set _ZL13mm_ids_helperILi4EEvPKiPiS2_S2_iiiii.private_seg_size, 0
	.set _ZL13mm_ids_helperILi4EEvPKiPiS2_S2_iiiii.uses_vcc, 1
	.set _ZL13mm_ids_helperILi4EEvPKiPiS2_S2_iiiii.uses_flat_scratch, 0
	.set _ZL13mm_ids_helperILi4EEvPKiPiS2_S2_iiiii.has_dyn_sized_stack, 0
	.set _ZL13mm_ids_helperILi4EEvPKiPiS2_S2_iiiii.has_recursion, 0
	.set _ZL13mm_ids_helperILi4EEvPKiPiS2_S2_iiiii.has_indirect_call, 0
	.section	.AMDGPU.csdata,"",@progbits
; Kernel info:
; codeLenInByte = 2732
; TotalNumSgprs: 25
; NumVgprs: 38
; ScratchSize: 0
; MemoryBound: 0
; FloatMode: 240
; IeeeMode: 1
; LDSByteSize: 0 bytes/workgroup (compile time only)
; SGPRBlocks: 0
; VGPRBlocks: 2
; NumSGPRsForWavesPerEU: 25
; NumVGPRsForWavesPerEU: 38
; NamedBarCnt: 0
; Occupancy: 16
; WaveLimiterHint : 0
; COMPUTE_PGM_RSRC2:SCRATCH_EN: 0
; COMPUTE_PGM_RSRC2:USER_SGPR: 2
; COMPUTE_PGM_RSRC2:TRAP_HANDLER: 0
; COMPUTE_PGM_RSRC2:TGID_X_EN: 1
; COMPUTE_PGM_RSRC2:TGID_Y_EN: 0
; COMPUTE_PGM_RSRC2:TGID_Z_EN: 0
; COMPUTE_PGM_RSRC2:TIDIG_COMP_CNT: 0
	.section	.text._ZL13mm_ids_helperILi6EEvPKiPiS2_S2_iiiii,"axG",@progbits,_ZL13mm_ids_helperILi6EEvPKiPiS2_S2_iiiii,comdat
	.globl	_ZL13mm_ids_helperILi6EEvPKiPiS2_S2_iiiii ; -- Begin function _ZL13mm_ids_helperILi6EEvPKiPiS2_S2_iiiii
	.p2align	8
	.type	_ZL13mm_ids_helperILi6EEvPKiPiS2_S2_iiiii,@function
_ZL13mm_ids_helperILi6EEvPKiPiS2_S2_iiiii: ; @_ZL13mm_ids_helperILi6EEvPKiPiS2_S2_iiiii
; %bb.0:
	s_load_b32 s15, s[0:1], 0x20
	s_bfe_u32 s2, ttmp6, 0x4000c
	s_and_b32 s3, ttmp6, 15
	s_add_co_i32 s2, s2, 1
	s_getreg_b32 s4, hwreg(HW_REG_IB_STS2, 6, 4)
	s_mul_i32 s2, ttmp9, s2
	v_mbcnt_lo_u32_b32 v4, -1, 0
	s_add_co_i32 s3, s3, s2
	s_cmp_eq_u32 s4, 0
	s_mov_b32 s2, 0
	s_cselect_b32 s7, ttmp9, s3
	s_wait_kmcnt 0x0
	s_cmp_gt_i32 s15, 0
	s_cbranch_scc1 .LBB2_2
; %bb.1:
	v_mbcnt_lo_u32_b32 v7, -1, 0
	s_delay_alu instid0(VALU_DEP_1)
	v_dual_mov_b32 v6, 0 :: v_dual_bitop2_b32 v1, 4, v7 bitop3:0x14
	v_xor_b32_e32 v2, 2, v7
	v_xor_b32_e32 v3, 1, v7
	s_branch .LBB2_3
.LBB2_2:
	s_mov_b32 s2, -1
                                        ; implicit-def: $vgpr7
                                        ; implicit-def: $vgpr6
                                        ; implicit-def: $vgpr1
                                        ; implicit-def: $vgpr2
                                        ; implicit-def: $vgpr3
.LBB2_3:
	s_clause 0x2
	s_load_b128 s[8:11], s[0:1], 0x8
	s_load_b64 s[16:17], s[0:1], 0x18
	s_load_b96 s[12:14], s[0:1], 0x28
	v_dual_mov_b32 v8, 0 :: v_dual_mov_b32 v5, 0
	s_and_not1_b32 vcc_lo, exec_lo, s2
	s_cbranch_vccnz .LBB2_11
; %bb.4:
	v_xor_b32_e32 v1, 4, v4
	v_and_b32_e32 v2, 24, v4
	v_and_b32_e32 v5, 7, v0
	v_xor_b32_e32 v3, 1, v4
	v_subrev_nc_u32_e32 v15, 24, v4
	s_load_b64 s[18:19], s[0:1], 0x0
	v_dual_add_nc_u32 v6, 8, v2 :: v_dual_bitop2_b32 v2, 2, v4 bitop3:0x14
	v_cmp_gt_u32_e64 s2, 6, v5
	v_cmp_gt_u32_e64 s3, 8, v0
	;; [unrolled: 1-line block ×3, first 2 shown]
	s_delay_alu instid0(VALU_DEP_4) | instskip(SKIP_4) | instid1(VALU_DEP_2)
	v_cmp_lt_i32_e32 vcc_lo, v1, v6
	v_cmp_gt_u32_e64 s5, 24, v0
	v_dual_mov_b32 v18, 0 :: v_dual_lshlrev_b32 v12, 22, v5
	v_cndmask_b32_e32 v8, v4, v1, vcc_lo
	v_cmp_lt_i32_e32 vcc_lo, v2, v6
	v_dual_cndmask_b32 v10, v4, v2 :: v_dual_lshlrev_b32 v9, 2, v8
	v_add_nc_u32_e32 v8, -8, v4
	v_cmp_lt_i32_e32 vcc_lo, v3, v6
	v_dual_mov_b32 v6, 0 :: v_dual_lshrrev_b32 v7, 3, v0
	s_delay_alu instid0(VALU_DEP_4) | instskip(NEXT) | instid1(VALU_DEP_4)
	v_dual_cndmask_b32 v11, v4, v3 :: v_dual_lshlrev_b32 v10, 2, v10
	v_cmp_gt_i32_e32 vcc_lo, 0, v8
	s_delay_alu instid0(VALU_DEP_2) | instskip(SKIP_1) | instid1(VALU_DEP_2)
	v_dual_add_nc_u32 v14, -16, v4 :: v_dual_lshlrev_b32 v11, 2, v11
	v_cndmask_b32_e32 v8, v8, v4, vcc_lo
	v_cmp_gt_i32_e32 vcc_lo, 0, v14
	v_dual_mov_b32 v13, 0x7c :: v_dual_cndmask_b32 v16, v14, v4
	v_cmp_gt_i32_e32 vcc_lo, 0, v15
	s_delay_alu instid0(VALU_DEP_4) | instskip(SKIP_1) | instid1(VALU_DEP_4)
	v_lshlrev_b32_e32 v14, 2, v8
	v_cndmask_b32_e32 v8, v15, v4, vcc_lo
	v_lshlrev_b32_e32 v15, 2, v16
	s_wait_kmcnt 0x0
	v_mad_u32 v16, s13, v7, v5
	v_mov_b32_e32 v5, 0
	s_lshl_b32 s13, s13, 2
	v_dual_mov_b32 v8, 0 :: v_dual_lshlrev_b32 v17, 2, v8
	s_branch .LBB2_6
.LBB2_5:                                ;   in Loop: Header=BB2_6 Depth=1
	s_or_b32 exec_lo, exec_lo, s6
	s_delay_alu instid0(VALU_DEP_1)
	v_dual_add_nc_u32 v20, v22, v21 :: v_dual_add_nc_u32 v18, 4, v18
	v_cmp_gt_i32_e64 s6, s7, v19
	v_add_nc_u32_e32 v16, s13, v16
	ds_bpermute_b32 v20, v13, v20
	v_cmp_le_i32_e32 vcc_lo, s15, v18
	v_add_co_ci_u32_e64 v8, null, 0, v8, s6
	s_wait_dscnt 0x0
	v_add_nc_u32_e32 v5, v20, v5
	s_cbranch_vccnz .LBB2_10
.LBB2_6:                                ; =>This Inner Loop Header: Depth=1
	v_add_nc_u32_e32 v20, v7, v18
	v_bfrev_b32_e32 v19, -2
	s_delay_alu instid0(VALU_DEP_2) | instskip(SKIP_1) | instid1(SALU_CYCLE_1)
	v_cmp_gt_i32_e32 vcc_lo, s15, v20
	s_and_b32 s20, s2, vcc_lo
	s_and_saveexec_b32 s6, s20
	s_cbranch_execz .LBB2_8
; %bb.7:                                ;   in Loop: Header=BB2_6 Depth=1
	global_load_b32 v19, v16, s[18:19] scale_offset
.LBB2_8:                                ;   in Loop: Header=BB2_6 Depth=1
	s_wait_xcnt 0x0
	s_or_b32 exec_lo, exec_lo, s6
	s_wait_loadcnt 0x0
	v_cmp_eq_u32_e32 vcc_lo, s7, v19
	v_cndmask_b32_e64 v21, 0, 1, vcc_lo
	ds_bpermute_b32 v22, v9, v21
	s_wait_dscnt 0x0
	v_or_b32_e32 v21, v22, v21
	s_delay_alu instid0(VALU_DEP_1) | instskip(NEXT) | instid1(VALU_DEP_1)
	v_cmp_ne_u32_e64 s6, 0, v21
	v_cndmask_b32_e64 v22, 0, 1, s6
	ds_bpermute_b32 v22, v10, v22
	s_wait_dscnt 0x0
	v_or_b32_e32 v21, v22, v21
	s_delay_alu instid0(VALU_DEP_1) | instskip(NEXT) | instid1(VALU_DEP_1)
	v_cmp_ne_u32_e64 s6, 0, v21
	v_cndmask_b32_e64 v22, 0, 1, s6
	;; [unrolled: 6-line block ×3, first 2 shown]
	ds_bpermute_b32 v22, v14, v21
	ds_bpermute_b32 v23, v15, v21
	;; [unrolled: 1-line block ×3, first 2 shown]
	s_wait_dscnt 0x2
	v_cndmask_b32_e64 v22, v22, 0, s3
	s_wait_dscnt 0x1
	v_cndmask_b32_e64 v23, v23, 0, s4
	;; [unrolled: 2-line block ×3, first 2 shown]
	s_delay_alu instid0(VALU_DEP_1)
	v_add3_u32 v22, v23, v22, v24
	s_and_saveexec_b32 s6, vcc_lo
	s_cbranch_execz .LBB2_5
; %bb.9:                                ;   in Loop: Header=BB2_6 Depth=1
	s_delay_alu instid0(VALU_DEP_1) | instskip(SKIP_1) | instid1(VALU_DEP_2)
	v_dual_lshlrev_b32 v23, 2, v5 :: v_dual_lshlrev_b32 v24, 2, v22
	v_and_or_b32 v20, 0x3fffff, v20, v12
	v_add3_u32 v23, 0, v23, v24
	ds_store_b32 v23, v20
	s_branch .LBB2_5
.LBB2_10:
	v_mov_b32_e32 v7, v4
.LBB2_11:
	s_delay_alu instid0(VALU_DEP_1) | instskip(SKIP_1) | instid1(VALU_DEP_1)
	v_dual_add_nc_u32 v4, 32, v6 :: v_dual_bitop2_b32 v6, 16, v7 bitop3:0x14
	s_mov_b32 s6, exec_lo
	v_cmp_lt_i32_e32 vcc_lo, v6, v4
	v_cndmask_b32_e32 v6, v7, v6, vcc_lo
	s_delay_alu instid0(VALU_DEP_1) | instskip(SKIP_2) | instid1(VALU_DEP_1)
	v_lshlrev_b32_e32 v6, 2, v6
	ds_bpermute_b32 v10, v6, v8
	v_xor_b32_e32 v6, 8, v7
	v_cmp_lt_i32_e32 vcc_lo, v6, v4
	v_cndmask_b32_e32 v6, v7, v6, vcc_lo
	v_cmp_lt_i32_e32 vcc_lo, v1, v4
	s_delay_alu instid0(VALU_DEP_2) | instskip(SKIP_2) | instid1(VALU_DEP_2)
	v_dual_cndmask_b32 v1, v7, v1 :: v_dual_lshlrev_b32 v6, 2, v6
	v_cmp_lt_i32_e32 vcc_lo, v2, v4
	s_wait_dscnt 0x0
	v_dual_add_nc_u32 v9, v10, v8 :: v_dual_lshlrev_b32 v1, 2, v1
	ds_bpermute_b32 v11, v6, v9
	s_wait_dscnt 0x0
	v_add_nc_u32_e32 v6, v11, v9
	ds_bpermute_b32 v12, v1, v6
	v_cndmask_b32_e32 v1, v7, v2, vcc_lo
	v_cmp_lt_i32_e32 vcc_lo, v3, v4
	s_wait_dscnt 0x0
	s_delay_alu instid0(VALU_DEP_2) | instskip(SKIP_3) | instid1(VALU_DEP_1)
	v_dual_lshlrev_b32 v1, 2, v1 :: v_dual_add_nc_u32 v2, v12, v6
	ds_bpermute_b32 v13, v1, v2
	v_cndmask_b32_e32 v1, v7, v3, vcc_lo
	s_wait_dscnt 0x0
	v_dual_lshlrev_b32 v1, 2, v1 :: v_dual_add_nc_u32 v2, v13, v2
	ds_bpermute_b32 v14, v1, v2
	s_wait_dscnt 0x0
	v_add_nc_u32_e32 v9, v14, v2
	v_cmpx_lt_i32_e64 v0, v5
	s_cbranch_execz .LBB2_25
; %bb.12:
	v_xad_u32 v2, v0, -1, v5
	v_mov_b32_e32 v1, v0
	s_mov_b32 s2, -1
	s_mov_b32 s15, exec_lo
	s_wait_kmcnt 0x0
	v_cmp_gt_u32_e64 s13, 0x160, v2
	v_cmpx_lt_u32_e32 0x15f, v2
	s_cbranch_execz .LBB2_22
; %bb.13:
	v_and_b32_e32 v1, 0xffffffe0, v2
	v_add_nc_u32_e32 v3, v9, v0
	s_delay_alu instid0(VALU_DEP_1) | instskip(NEXT) | instid1(VALU_DEP_1)
	v_add_nc_u32_e32 v1, v3, v1
	v_cmp_ge_i32_e32 vcc_lo, v1, v3
	v_mov_b32_e32 v1, v0
	s_and_saveexec_b32 s18, vcc_lo
	s_cbranch_execz .LBB2_21
; %bb.14:
	v_dual_lshrrev_b32 v15, 5, v2 :: v_dual_add_nc_u32 v1, 32, v0
	s_mov_b32 s19, exec_lo
	s_delay_alu instid0(VALU_DEP_1) | instskip(NEXT) | instid1(VALU_DEP_2)
	v_dual_mov_b32 v4, 0 :: v_dual_add_nc_u32 v16, -1, v15
	v_mov_b64_e32 v[2:3], v[0:1]
	s_delay_alu instid0(VALU_DEP_2)
	v_cmpx_lt_u32_e32 1, v16
	s_cbranch_execz .LBB2_18
; %bb.15:
	s_abs_i32 s20, s12
	v_lshl_add_u32 v17, v0, 2, 0
	s_cvt_f32_u32 s2, s20
	s_sub_co_i32 s3, 0, s20
	s_mov_b32 s5, 0
	v_add_nc_u32_e32 v4, 64, v9
	v_rcp_iflag_f32_e32 v2, s2
	s_mov_b32 s21, s5
	s_mov_b32 s22, s5
	v_nop
	s_delay_alu instid0(TRANS32_DEP_1) | instskip(SKIP_2) | instid1(VALU_DEP_1)
	v_readfirstlane_b32 s2, v2
	v_dual_mov_b32 v7, 0 :: v_dual_lshrrev_b32 v2, 1, v16
	s_mul_f32 s2, s2, 0x4f7ffffe
	v_add_nc_u32_e32 v6, 1, v2
	v_mov_b64_e32 v[2:3], v[0:1]
	v_mov_b32_e32 v1, v4
	s_cvt_u32_f32 s2, s2
	s_delay_alu instid0(VALU_DEP_3) | instskip(NEXT) | instid1(SALU_CYCLE_2)
	v_and_b32_e32 v18, -2, v6
	s_mul_i32 s3, s3, s2
	s_delay_alu instid0(SALU_CYCLE_1) | instskip(NEXT) | instid1(SALU_CYCLE_1)
	s_mul_hi_u32 s3, s2, s3
	s_add_co_i32 s4, s2, s3
.LBB2_16:                               ; =>This Inner Loop Header: Depth=1
	ds_load_2addr_b32 v[20:21], v17 offset1:32
	ds_load_2addr_b32 v[24:25], v17 offset0:64 offset1:96
	v_dual_mov_b32 v23, v7 :: v_dual_add_nc_u32 v31, v2, v9
	v_dual_mov_b32 v27, v7 :: v_dual_add_nc_u32 v18, -2, v18
	s_add_co_i32 s22, s22, 4
	v_dual_add_nc_u32 v30, v3, v9 :: v_dual_add_nc_u32 v33, v2, v4
	v_dual_mov_b32 v19, s22 :: v_dual_add_nc_u32 v32, v3, v1
	s_delay_alu instid0(VALU_DEP_3)
	v_cmp_eq_u32_e32 vcc_lo, 0, v18
	s_or_b32 s21, vcc_lo, s21
	s_wait_dscnt 0x1
	v_dual_lshrrev_b32 v6, 22, v20 :: v_dual_lshrrev_b32 v22, 22, v21
	v_and_b32_e32 v34, 0x3fffff, v21
	v_and_b32_e32 v35, 0x3fffff, v20
	s_wait_dscnt 0x0
	v_and_b32_e32 v36, 0x3fffff, v25
	v_mul_u64_e32 v[20:21], s[4:5], v[6:7]
	v_mul_u64_e32 v[28:29], s[4:5], v[22:23]
	v_and_b32_e32 v37, 0x3fffff, v24
	v_mad_u32_u24 v23, v35, 6, v6
	s_delay_alu instid0(VALU_DEP_4) | instskip(NEXT) | instid1(VALU_DEP_1)
	v_mul_lo_u32 v20, v21, s20
	v_dual_lshrrev_b32 v26, 22, v25 :: v_dual_sub_nc_u32 v28, v6, v20
	s_delay_alu instid0(VALU_DEP_1) | instskip(SKIP_1) | instid1(VALU_DEP_3)
	v_mul_u64_e32 v[20:21], s[4:5], v[26:27]
	v_mul_lo_u32 v20, v29, s20
	v_cmp_le_u32_e64 s3, s20, v28
	s_delay_alu instid0(VALU_DEP_3) | instskip(NEXT) | instid1(VALU_DEP_1)
	v_mul_lo_u32 v21, v21, s20
	v_dual_lshrrev_b32 v6, 22, v24 :: v_dual_sub_nc_u32 v21, v26, v21
	s_delay_alu instid0(VALU_DEP_1) | instskip(SKIP_2) | instid1(VALU_DEP_4)
	v_mul_u64_e32 v[24:25], s[4:5], v[6:7]
	v_subrev_nc_u32_e32 v24, s20, v28
	v_mad_u32_u24 v26, v36, 6, v26
	v_subrev_nc_u32_e32 v29, s20, v21
	v_cmp_le_u32_e64 s2, s20, v21
	v_sub_nc_u32_e32 v20, v22, v20
	v_mad_u32_u24 v22, v34, 6, v22
	s_delay_alu instid0(VALU_DEP_3) | instskip(NEXT) | instid1(VALU_DEP_3)
	v_cndmask_b32_e64 v21, v21, v29, s2
	v_subrev_nc_u32_e32 v27, s20, v20
	v_cmp_le_u32_e32 vcc_lo, s20, v20
	v_add_nc_u32_e32 v17, 0x200, v17
	s_delay_alu instid0(VALU_DEP_4) | instskip(SKIP_2) | instid1(VALU_DEP_2)
	v_subrev_nc_u32_e32 v29, s20, v21
	v_cmp_le_u32_e64 s2, s20, v21
	v_cndmask_b32_e64 v24, v28, v24, s3
	v_dual_cndmask_b32 v20, v20, v27, vcc_lo :: v_dual_cndmask_b32 v21, v21, v29, s2
	s_delay_alu instid0(VALU_DEP_2) | instskip(SKIP_1) | instid1(VALU_DEP_3)
	v_subrev_nc_u32_e32 v27, s20, v24
	v_cmp_le_u32_e64 s3, s20, v24
	v_subrev_nc_u32_e32 v28, s20, v20
	v_cmp_le_u32_e32 vcc_lo, s20, v20
	v_add_nc_u32_e32 v3, 0x80, v3
	v_mad_u32 v21, v36, s14, v21
	s_delay_alu instid0(VALU_DEP_4) | instskip(SKIP_2) | instid1(VALU_DEP_3)
	v_cndmask_b32_e32 v20, v20, v28, vcc_lo
	v_mul_lo_u32 v25, v25, s20
	v_cndmask_b32_e64 v24, v24, v27, s3
	v_mad_u32 v20, v34, s14, v20
	s_delay_alu instid0(VALU_DEP_3) | instskip(NEXT) | instid1(VALU_DEP_3)
	v_sub_nc_u32_e32 v25, v6, v25
	v_mad_u32 v24, v35, s14, v24
	v_mad_u32_u24 v6, v37, 6, v6
	s_delay_alu instid0(VALU_DEP_3) | instskip(SKIP_1) | instid1(VALU_DEP_2)
	v_subrev_nc_u32_e32 v27, s20, v25
	v_cmp_le_u32_e32 vcc_lo, s20, v25
	v_dual_cndmask_b32 v25, v25, v27 :: v_dual_add_nc_u32 v2, 0x80, v2
	s_delay_alu instid0(VALU_DEP_1) | instskip(SKIP_1) | instid1(VALU_DEP_2)
	v_subrev_nc_u32_e32 v27, s20, v25
	v_cmp_le_u32_e32 vcc_lo, s20, v25
	v_cndmask_b32_e32 v25, v25, v27, vcc_lo
	s_delay_alu instid0(VALU_DEP_1)
	v_mad_u32 v25, v37, s14, v25
	s_clause 0x1
	global_store_b32 v31, v24, s[8:9] scale_offset
	global_store_b32 v31, v23, s[10:11] scale_offset
	s_clause 0x1
	global_store_b32 v30, v20, s[8:9] scale_offset
	global_store_b32 v30, v22, s[10:11] scale_offset
	;; [unrolled: 3-line block ×4, first 2 shown]
	s_wait_xcnt 0x0
	s_and_not1_b32 exec_lo, exec_lo, s21
	s_cbranch_execnz .LBB2_16
; %bb.17:
	s_or_b32 exec_lo, exec_lo, s21
	v_lshlrev_b32_e32 v4, 5, v19
.LBB2_18:
	s_or_b32 exec_lo, exec_lo, s19
	v_and_b32_e32 v1, 2, v16
	s_mov_b32 s2, exec_lo
	s_delay_alu instid0(VALU_DEP_1)
	v_cmpx_eq_u32_e32 0, v1
	s_cbranch_execz .LBB2_20
; %bb.19:
	v_add_nc_u32_e32 v1, v0, v4
	s_abs_i32 s3, s12
	v_add_nc_u32_e32 v3, v3, v9
	s_cvt_f32_u32 s4, s3
	s_sub_co_i32 s5, 0, s3
	v_lshl_add_u32 v1, v1, 2, 0
	v_add_nc_u32_e32 v2, v2, v9
	v_rcp_iflag_f32_e32 v4, s4
	ds_load_2addr_b32 v[6:7], v1 offset1:32
	v_nop
	v_readfirstlane_b32 s4, v4
	s_mul_f32 s4, s4, 0x4f7ffffe
	s_delay_alu instid0(SALU_CYCLE_3) | instskip(NEXT) | instid1(SALU_CYCLE_3)
	s_cvt_u32_f32 s4, s4
	s_mul_i32 s5, s5, s4
	s_delay_alu instid0(SALU_CYCLE_1) | instskip(SKIP_4) | instid1(VALU_DEP_2)
	s_mul_hi_u32 s5, s4, s5
	s_wait_dscnt 0x0
	v_lshrrev_b32_e32 v4, 22, v7
	s_add_co_i32 s4, s4, s5
	v_and_b32_e32 v7, 0x3fffff, v7
	v_mul_hi_u32 v17, v4, s4
	s_delay_alu instid0(VALU_DEP_1) | instskip(SKIP_2) | instid1(VALU_DEP_3)
	v_mul_lo_u32 v17, v17, s3
	v_lshrrev_b32_e32 v1, 22, v6
	v_and_b32_e32 v6, 0x3fffff, v6
	v_sub_nc_u32_e32 v17, v4, v17
	s_delay_alu instid0(VALU_DEP_3) | instskip(SKIP_1) | instid1(VALU_DEP_3)
	v_mul_hi_u32 v16, v1, s4
	v_mad_u32_u24 v4, v7, 6, v4
	v_subrev_nc_u32_e32 v19, s3, v17
	s_delay_alu instid0(VALU_DEP_3) | instskip(NEXT) | instid1(VALU_DEP_1)
	v_mul_lo_u32 v16, v16, s3
	v_sub_nc_u32_e32 v16, v1, v16
	v_mad_u32_u24 v1, v6, 6, v1
	s_delay_alu instid0(VALU_DEP_2) | instskip(SKIP_1) | instid1(VALU_DEP_2)
	v_subrev_nc_u32_e32 v18, s3, v16
	v_cmp_le_u32_e32 vcc_lo, s3, v16
	v_cndmask_b32_e32 v16, v16, v18, vcc_lo
	v_cmp_le_u32_e32 vcc_lo, s3, v17
	v_cndmask_b32_e32 v17, v17, v19, vcc_lo
	s_delay_alu instid0(VALU_DEP_3) | instskip(SKIP_1) | instid1(VALU_DEP_3)
	v_subrev_nc_u32_e32 v18, s3, v16
	v_cmp_le_u32_e32 vcc_lo, s3, v16
	v_subrev_nc_u32_e32 v19, s3, v17
	s_delay_alu instid0(VALU_DEP_3) | instskip(SKIP_1) | instid1(VALU_DEP_3)
	v_cndmask_b32_e32 v16, v16, v18, vcc_lo
	v_cmp_le_u32_e32 vcc_lo, s3, v17
	v_cndmask_b32_e32 v17, v17, v19, vcc_lo
	s_delay_alu instid0(VALU_DEP_3) | instskip(NEXT) | instid1(VALU_DEP_2)
	v_mad_u32 v16, v6, s14, v16
	v_mad_u32 v17, v7, s14, v17
	s_clause 0x1
	global_store_b32 v2, v16, s[8:9] scale_offset
	global_store_b32 v2, v1, s[10:11] scale_offset
	s_clause 0x1
	global_store_b32 v3, v17, s[8:9] scale_offset
	global_store_b32 v3, v4, s[10:11] scale_offset
.LBB2_20:
	s_wait_xcnt 0x0
	s_or_b32 exec_lo, exec_lo, s2
	v_add_nc_u32_e32 v1, 1, v15
	s_delay_alu instid0(VALU_DEP_1) | instskip(NEXT) | instid1(VALU_DEP_1)
	v_and_b32_e32 v2, 0xffffffe, v1
	v_cmp_ne_u32_e32 vcc_lo, v1, v2
	v_lshl_add_u32 v1, v2, 5, v0
	s_or_not1_b32 s2, vcc_lo, exec_lo
.LBB2_21:
	s_or_b32 exec_lo, exec_lo, s18
	s_delay_alu instid0(SALU_CYCLE_1) | instskip(SKIP_1) | instid1(SALU_CYCLE_1)
	s_and_not1_b32 s3, s13, exec_lo
	s_and_b32 s2, s2, exec_lo
	s_or_b32 s13, s3, s2
.LBB2_22:
	s_or_b32 exec_lo, exec_lo, s15
	s_delay_alu instid0(SALU_CYCLE_1)
	s_and_b32 exec_lo, exec_lo, s13
	s_cbranch_execz .LBB2_25
; %bb.23:
	s_abs_i32 s4, s12
	v_lshl_add_u32 v4, v1, 2, 0
	s_cvt_f32_u32 s2, s4
	s_sub_co_i32 s3, 0, s4
	v_mov_b32_e32 v3, 0
	s_delay_alu instid0(SALU_CYCLE_1) | instskip(SKIP_1) | instid1(TRANS32_DEP_1)
	v_rcp_iflag_f32_e32 v2, s2
	v_nop
	v_readfirstlane_b32 s2, v2
	v_add3_u32 v2, v10, v11, v12
	s_mul_f32 s2, s2, 0x4f7ffffe
	s_delay_alu instid0(VALU_DEP_1) | instskip(NEXT) | instid1(SALU_CYCLE_2)
	v_add3_u32 v2, v2, v13, v14
	s_cvt_u32_f32 s2, s2
	s_delay_alu instid0(VALU_DEP_1) | instskip(NEXT) | instid1(SALU_CYCLE_2)
	v_add3_u32 v6, v2, v1, v8
	s_mul_i32 s3, s3, s2
	s_delay_alu instid0(SALU_CYCLE_1)
	s_mul_hi_u32 s5, s2, s3
	s_mov_b32 s3, 0
	s_add_co_i32 s2, s2, s5
	s_mov_b32 s5, s3
.LBB2_24:                               ; =>This Inner Loop Header: Depth=1
	ds_load_b32 v7, v4
	v_add_nc_u32_e32 v4, 0x80, v4
	s_wait_dscnt 0x0
	v_dual_add_nc_u32 v1, 32, v1 :: v_dual_lshrrev_b32 v2, 22, v7
	v_and_b32_e32 v7, 0x3fffff, v7
	s_delay_alu instid0(VALU_DEP_2) | instskip(NEXT) | instid1(VALU_DEP_1)
	v_mul_u64_e32 v[10:11], s[2:3], v[2:3]
	v_mul_lo_u32 v8, v11, s4
	s_delay_alu instid0(VALU_DEP_1) | instskip(NEXT) | instid1(VALU_DEP_1)
	v_sub_nc_u32_e32 v8, v2, v8
	v_subrev_nc_u32_e32 v10, s4, v8
	v_cmp_le_u32_e32 vcc_lo, s4, v8
	s_delay_alu instid0(VALU_DEP_2) | instskip(SKIP_1) | instid1(VALU_DEP_2)
	v_cndmask_b32_e32 v8, v8, v10, vcc_lo
	v_mad_u32_u24 v2, v7, 6, v2
	v_subrev_nc_u32_e32 v10, s4, v8
	v_cmp_le_u32_e32 vcc_lo, s4, v8
	s_delay_alu instid0(VALU_DEP_2) | instskip(SKIP_1) | instid1(VALU_DEP_2)
	v_cndmask_b32_e32 v8, v8, v10, vcc_lo
	v_cmp_ge_i32_e32 vcc_lo, v1, v5
	v_mad_u32 v8, v7, s14, v8
	s_or_b32 s5, vcc_lo, s5
	s_clause 0x1
	global_store_b32 v6, v8, s[8:9] scale_offset
	global_store_b32 v6, v2, s[10:11] scale_offset
	s_wait_xcnt 0x0
	v_add_nc_u32_e32 v6, 32, v6
	s_and_not1_b32 exec_lo, exec_lo, s5
	s_cbranch_execnz .LBB2_24
.LBB2_25:
	s_or_b32 exec_lo, exec_lo, s6
	s_delay_alu instid0(SALU_CYCLE_1)
	s_mov_b32 s2, exec_lo
	v_cmpx_eq_u32_e32 0, v0
	s_cbranch_execz .LBB2_28
; %bb.26:
	s_wait_xcnt 0x0
	s_load_b32 s0, s[0:1], 0x38
	v_mov_b32_e32 v0, s7
	s_wait_kmcnt 0x0
	global_store_b32 v0, v9, s[16:17] scale_offset
	s_add_co_i32 s1, s0, -1
	s_delay_alu instid0(SALU_CYCLE_1)
	s_cmp_lt_i32 s7, s1
	s_cbranch_scc1 .LBB2_28
; %bb.27:
	s_wait_xcnt 0x0
	v_dual_mov_b32 v1, s0 :: v_dual_add_nc_u32 v0, v9, v5
	global_store_b32 v1, v0, s[16:17] scale_offset
.LBB2_28:
	s_endpgm
	.section	.rodata,"a",@progbits
	.p2align	6, 0x0
	.amdhsa_kernel _ZL13mm_ids_helperILi6EEvPKiPiS2_S2_iiiii
		.amdhsa_group_segment_fixed_size 0
		.amdhsa_private_segment_fixed_size 0
		.amdhsa_kernarg_size 312
		.amdhsa_user_sgpr_count 2
		.amdhsa_user_sgpr_dispatch_ptr 0
		.amdhsa_user_sgpr_queue_ptr 0
		.amdhsa_user_sgpr_kernarg_segment_ptr 1
		.amdhsa_user_sgpr_dispatch_id 0
		.amdhsa_user_sgpr_kernarg_preload_length 0
		.amdhsa_user_sgpr_kernarg_preload_offset 0
		.amdhsa_user_sgpr_private_segment_size 0
		.amdhsa_wavefront_size32 1
		.amdhsa_uses_dynamic_stack 0
		.amdhsa_enable_private_segment 0
		.amdhsa_system_sgpr_workgroup_id_x 1
		.amdhsa_system_sgpr_workgroup_id_y 0
		.amdhsa_system_sgpr_workgroup_id_z 0
		.amdhsa_system_sgpr_workgroup_info 0
		.amdhsa_system_vgpr_workitem_id 0
		.amdhsa_next_free_vgpr 38
		.amdhsa_next_free_sgpr 23
		.amdhsa_named_barrier_count 0
		.amdhsa_reserve_vcc 1
		.amdhsa_float_round_mode_32 0
		.amdhsa_float_round_mode_16_64 0
		.amdhsa_float_denorm_mode_32 3
		.amdhsa_float_denorm_mode_16_64 3
		.amdhsa_fp16_overflow 0
		.amdhsa_memory_ordered 1
		.amdhsa_forward_progress 1
		.amdhsa_inst_pref_size 21
		.amdhsa_round_robin_scheduling 0
		.amdhsa_exception_fp_ieee_invalid_op 0
		.amdhsa_exception_fp_denorm_src 0
		.amdhsa_exception_fp_ieee_div_zero 0
		.amdhsa_exception_fp_ieee_overflow 0
		.amdhsa_exception_fp_ieee_underflow 0
		.amdhsa_exception_fp_ieee_inexact 0
		.amdhsa_exception_int_div_zero 0
	.end_amdhsa_kernel
	.section	.text._ZL13mm_ids_helperILi6EEvPKiPiS2_S2_iiiii,"axG",@progbits,_ZL13mm_ids_helperILi6EEvPKiPiS2_S2_iiiii,comdat
.Lfunc_end2:
	.size	_ZL13mm_ids_helperILi6EEvPKiPiS2_S2_iiiii, .Lfunc_end2-_ZL13mm_ids_helperILi6EEvPKiPiS2_S2_iiiii
                                        ; -- End function
	.set _ZL13mm_ids_helperILi6EEvPKiPiS2_S2_iiiii.num_vgpr, 38
	.set _ZL13mm_ids_helperILi6EEvPKiPiS2_S2_iiiii.num_agpr, 0
	.set _ZL13mm_ids_helperILi6EEvPKiPiS2_S2_iiiii.numbered_sgpr, 23
	.set _ZL13mm_ids_helperILi6EEvPKiPiS2_S2_iiiii.num_named_barrier, 0
	.set _ZL13mm_ids_helperILi6EEvPKiPiS2_S2_iiiii.private_seg_size, 0
	.set _ZL13mm_ids_helperILi6EEvPKiPiS2_S2_iiiii.uses_vcc, 1
	.set _ZL13mm_ids_helperILi6EEvPKiPiS2_S2_iiiii.uses_flat_scratch, 0
	.set _ZL13mm_ids_helperILi6EEvPKiPiS2_S2_iiiii.has_dyn_sized_stack, 0
	.set _ZL13mm_ids_helperILi6EEvPKiPiS2_S2_iiiii.has_recursion, 0
	.set _ZL13mm_ids_helperILi6EEvPKiPiS2_S2_iiiii.has_indirect_call, 0
	.section	.AMDGPU.csdata,"",@progbits
; Kernel info:
; codeLenInByte = 2572
; TotalNumSgprs: 25
; NumVgprs: 38
; ScratchSize: 0
; MemoryBound: 0
; FloatMode: 240
; IeeeMode: 1
; LDSByteSize: 0 bytes/workgroup (compile time only)
; SGPRBlocks: 0
; VGPRBlocks: 2
; NumSGPRsForWavesPerEU: 25
; NumVGPRsForWavesPerEU: 38
; NamedBarCnt: 0
; Occupancy: 16
; WaveLimiterHint : 0
; COMPUTE_PGM_RSRC2:SCRATCH_EN: 0
; COMPUTE_PGM_RSRC2:USER_SGPR: 2
; COMPUTE_PGM_RSRC2:TRAP_HANDLER: 0
; COMPUTE_PGM_RSRC2:TGID_X_EN: 1
; COMPUTE_PGM_RSRC2:TGID_Y_EN: 0
; COMPUTE_PGM_RSRC2:TGID_Z_EN: 0
; COMPUTE_PGM_RSRC2:TIDIG_COMP_CNT: 0
	.section	.text._ZL13mm_ids_helperILi8EEvPKiPiS2_S2_iiiii,"axG",@progbits,_ZL13mm_ids_helperILi8EEvPKiPiS2_S2_iiiii,comdat
	.globl	_ZL13mm_ids_helperILi8EEvPKiPiS2_S2_iiiii ; -- Begin function _ZL13mm_ids_helperILi8EEvPKiPiS2_S2_iiiii
	.p2align	8
	.type	_ZL13mm_ids_helperILi8EEvPKiPiS2_S2_iiiii,@function
_ZL13mm_ids_helperILi8EEvPKiPiS2_S2_iiiii: ; @_ZL13mm_ids_helperILi8EEvPKiPiS2_S2_iiiii
; %bb.0:
	s_load_b32 s18, s[0:1], 0x20
	s_bfe_u32 s2, ttmp6, 0x4000c
	s_and_b32 s3, ttmp6, 15
	s_add_co_i32 s2, s2, 1
	s_getreg_b32 s4, hwreg(HW_REG_IB_STS2, 6, 4)
	s_mul_i32 s2, ttmp9, s2
	v_mbcnt_lo_u32_b32 v4, -1, 0
	s_add_co_i32 s3, s3, s2
	s_cmp_eq_u32 s4, 0
	s_mov_b32 s2, 0
	s_cselect_b32 s15, ttmp9, s3
	s_wait_kmcnt 0x0
	s_cmp_gt_i32 s18, 0
	s_cbranch_scc1 .LBB3_2
; %bb.1:
	v_mbcnt_lo_u32_b32 v7, -1, 0
	s_delay_alu instid0(VALU_DEP_1)
	v_dual_mov_b32 v6, 0 :: v_dual_bitop2_b32 v1, 4, v7 bitop3:0x14
	v_xor_b32_e32 v2, 2, v7
	v_xor_b32_e32 v3, 1, v7
	s_branch .LBB3_3
.LBB3_2:
	s_mov_b32 s2, -1
                                        ; implicit-def: $vgpr7
                                        ; implicit-def: $vgpr6
                                        ; implicit-def: $vgpr1
                                        ; implicit-def: $vgpr2
                                        ; implicit-def: $vgpr3
.LBB3_3:
	s_clause 0x2
	s_load_b128 s[8:11], s[0:1], 0x8
	s_load_b64 s[6:7], s[0:1], 0x18
	s_load_b96 s[12:14], s[0:1], 0x28
	v_dual_mov_b32 v8, 0 :: v_dual_mov_b32 v5, 0
	s_and_not1_b32 vcc_lo, exec_lo, s2
	s_cbranch_vccnz .LBB3_11
; %bb.4:
	v_xor_b32_e32 v1, 4, v4
	v_and_b32_e32 v2, 24, v4
	v_xor_b32_e32 v3, 1, v4
	v_dual_lshrrev_b32 v7, 3, v0 :: v_dual_bitop2_b32 v8, 7, v0 bitop3:0x40
	s_load_b64 s[16:17], s[0:1], 0x0
	s_delay_alu instid0(VALU_DEP_3)
	v_dual_add_nc_u32 v5, 8, v2 :: v_dual_bitop2_b32 v2, 2, v4 bitop3:0x14
	v_subrev_nc_u32_e32 v15, 24, v4
	s_wait_kmcnt 0x0
	v_mad_u32 v16, s13, v7, v8
	v_cmp_gt_u32_e64 s2, 8, v0
	v_cmp_lt_i32_e32 vcc_lo, v1, v5
	v_cmp_gt_u32_e64 s3, 16, v0
	v_cmp_gt_u32_e64 s4, 24, v0
	v_mov_b32_e32 v18, 0
	s_lshl_b32 s13, s13, 2
	v_cndmask_b32_e32 v9, v4, v1, vcc_lo
	v_cmp_lt_i32_e32 vcc_lo, v2, v5
	v_dual_mov_b32 v6, 0 :: v_dual_lshlrev_b32 v12, 22, v8
	s_delay_alu instid0(VALU_DEP_3) | instskip(SKIP_2) | instid1(VALU_DEP_2)
	v_dual_mov_b32 v8, 0 :: v_dual_lshlrev_b32 v9, 2, v9
	v_cndmask_b32_e32 v10, v4, v2, vcc_lo
	v_cmp_lt_i32_e32 vcc_lo, v3, v5
	v_dual_add_nc_u32 v13, -8, v4 :: v_dual_lshlrev_b32 v10, 2, v10
	v_cndmask_b32_e32 v5, v4, v3, vcc_lo
	s_delay_alu instid0(VALU_DEP_2) | instskip(NEXT) | instid1(VALU_DEP_2)
	v_cmp_gt_i32_e32 vcc_lo, 0, v13
	v_dual_lshlrev_b32 v11, 2, v5 :: v_dual_add_nc_u32 v5, -16, v4
	v_dual_cndmask_b32 v14, v13, v4 :: v_dual_mov_b32 v13, 0x7c
	s_delay_alu instid0(VALU_DEP_2) | instskip(NEXT) | instid1(VALU_DEP_2)
	v_cmp_gt_i32_e32 vcc_lo, 0, v5
	v_dual_cndmask_b32 v5, v5, v4 :: v_dual_lshlrev_b32 v14, 2, v14
	v_cmp_gt_i32_e32 vcc_lo, 0, v15
	s_delay_alu instid0(VALU_DEP_2) | instskip(NEXT) | instid1(VALU_DEP_1)
	v_dual_cndmask_b32 v17, v15, v4, vcc_lo :: v_dual_lshlrev_b32 v15, 2, v5
	v_dual_mov_b32 v5, 0 :: v_dual_lshlrev_b32 v17, 2, v17
	s_branch .LBB3_6
.LBB3_5:                                ;   in Loop: Header=BB3_6 Depth=1
	s_or_b32 exec_lo, exec_lo, s5
	s_delay_alu instid0(VALU_DEP_1)
	v_dual_add_nc_u32 v20, v22, v21 :: v_dual_add_nc_u32 v18, 4, v18
	v_cmp_gt_i32_e64 s5, s15, v19
	v_add_nc_u32_e32 v16, s13, v16
	ds_bpermute_b32 v20, v13, v20
	v_cmp_le_i32_e32 vcc_lo, s18, v18
	v_add_co_ci_u32_e64 v8, null, 0, v8, s5
	s_wait_dscnt 0x0
	v_add_nc_u32_e32 v5, v20, v5
	s_cbranch_vccnz .LBB3_10
.LBB3_6:                                ; =>This Inner Loop Header: Depth=1
	v_add_nc_u32_e32 v20, v7, v18
	v_bfrev_b32_e32 v19, -2
	s_mov_b32 s5, exec_lo
	s_delay_alu instid0(VALU_DEP_2)
	v_cmpx_gt_i32_e64 s18, v20
	s_cbranch_execz .LBB3_8
; %bb.7:                                ;   in Loop: Header=BB3_6 Depth=1
	global_load_b32 v19, v16, s[16:17] scale_offset
.LBB3_8:                                ;   in Loop: Header=BB3_6 Depth=1
	s_wait_xcnt 0x0
	s_or_b32 exec_lo, exec_lo, s5
	s_wait_loadcnt 0x0
	v_cmp_eq_u32_e32 vcc_lo, s15, v19
	v_cndmask_b32_e64 v21, 0, 1, vcc_lo
	ds_bpermute_b32 v22, v9, v21
	s_wait_dscnt 0x0
	v_or_b32_e32 v21, v22, v21
	s_delay_alu instid0(VALU_DEP_1) | instskip(NEXT) | instid1(VALU_DEP_1)
	v_cmp_ne_u32_e64 s5, 0, v21
	v_cndmask_b32_e64 v22, 0, 1, s5
	ds_bpermute_b32 v22, v10, v22
	s_wait_dscnt 0x0
	v_or_b32_e32 v21, v22, v21
	s_delay_alu instid0(VALU_DEP_1) | instskip(NEXT) | instid1(VALU_DEP_1)
	v_cmp_ne_u32_e64 s5, 0, v21
	v_cndmask_b32_e64 v22, 0, 1, s5
	;; [unrolled: 6-line block ×3, first 2 shown]
	ds_bpermute_b32 v22, v14, v21
	ds_bpermute_b32 v23, v15, v21
	;; [unrolled: 1-line block ×3, first 2 shown]
	s_wait_dscnt 0x2
	v_cndmask_b32_e64 v22, v22, 0, s2
	s_wait_dscnt 0x1
	v_cndmask_b32_e64 v23, v23, 0, s3
	s_wait_dscnt 0x0
	v_cndmask_b32_e64 v24, v24, 0, s4
	s_delay_alu instid0(VALU_DEP_1)
	v_add3_u32 v22, v23, v22, v24
	s_and_saveexec_b32 s5, vcc_lo
	s_cbranch_execz .LBB3_5
; %bb.9:                                ;   in Loop: Header=BB3_6 Depth=1
	s_delay_alu instid0(VALU_DEP_1) | instskip(SKIP_1) | instid1(VALU_DEP_2)
	v_dual_lshlrev_b32 v23, 2, v5 :: v_dual_lshlrev_b32 v24, 2, v22
	v_and_or_b32 v20, 0x3fffff, v20, v12
	v_add3_u32 v23, 0, v23, v24
	ds_store_b32 v23, v20
	s_branch .LBB3_5
.LBB3_10:
	v_mov_b32_e32 v7, v4
.LBB3_11:
	s_delay_alu instid0(VALU_DEP_1) | instskip(SKIP_2) | instid1(VALU_DEP_1)
	v_dual_add_nc_u32 v4, 32, v6 :: v_dual_bitop2_b32 v6, 16, v7 bitop3:0x14
	s_wait_kmcnt 0x0
	s_mov_b32 s13, exec_lo
	v_cmp_lt_i32_e32 vcc_lo, v6, v4
	v_cndmask_b32_e32 v6, v7, v6, vcc_lo
	s_delay_alu instid0(VALU_DEP_1) | instskip(SKIP_2) | instid1(VALU_DEP_1)
	v_lshlrev_b32_e32 v6, 2, v6
	ds_bpermute_b32 v10, v6, v8
	v_xor_b32_e32 v6, 8, v7
	v_cmp_lt_i32_e32 vcc_lo, v6, v4
	v_cndmask_b32_e32 v6, v7, v6, vcc_lo
	v_cmp_lt_i32_e32 vcc_lo, v1, v4
	s_delay_alu instid0(VALU_DEP_2) | instskip(SKIP_2) | instid1(VALU_DEP_2)
	v_dual_cndmask_b32 v1, v7, v1 :: v_dual_lshlrev_b32 v6, 2, v6
	v_cmp_lt_i32_e32 vcc_lo, v2, v4
	s_wait_dscnt 0x0
	v_dual_add_nc_u32 v9, v10, v8 :: v_dual_lshlrev_b32 v1, 2, v1
	ds_bpermute_b32 v11, v6, v9
	s_wait_dscnt 0x0
	v_add_nc_u32_e32 v6, v11, v9
	ds_bpermute_b32 v12, v1, v6
	v_cndmask_b32_e32 v1, v7, v2, vcc_lo
	v_cmp_lt_i32_e32 vcc_lo, v3, v4
	s_wait_dscnt 0x0
	s_delay_alu instid0(VALU_DEP_2) | instskip(SKIP_3) | instid1(VALU_DEP_1)
	v_dual_lshlrev_b32 v1, 2, v1 :: v_dual_add_nc_u32 v2, v12, v6
	ds_bpermute_b32 v13, v1, v2
	v_cndmask_b32_e32 v1, v7, v3, vcc_lo
	s_wait_dscnt 0x0
	v_dual_lshlrev_b32 v1, 2, v1 :: v_dual_add_nc_u32 v2, v13, v2
	ds_bpermute_b32 v14, v1, v2
	s_wait_dscnt 0x0
	v_add_nc_u32_e32 v9, v14, v2
	v_cmpx_lt_i32_e64 v0, v5
	s_cbranch_execz .LBB3_25
; %bb.12:
	v_xad_u32 v2, v0, -1, v5
	v_mov_b32_e32 v1, v0
	s_mov_b32 s2, -1
	s_mov_b32 s17, exec_lo
	s_delay_alu instid0(VALU_DEP_2)
	v_cmp_gt_u32_e64 s16, 0x1a0, v2
	v_cmpx_lt_u32_e32 0x19f, v2
	s_cbranch_execz .LBB3_22
; %bb.13:
	v_and_b32_e32 v1, 0xffffffe0, v2
	v_add_nc_u32_e32 v3, v9, v0
	s_delay_alu instid0(VALU_DEP_1) | instskip(NEXT) | instid1(VALU_DEP_1)
	v_add_nc_u32_e32 v1, v3, v1
	v_cmp_ge_i32_e32 vcc_lo, v1, v3
	v_mov_b32_e32 v1, v0
	s_and_saveexec_b32 s18, vcc_lo
	s_cbranch_execz .LBB3_21
; %bb.14:
	v_dual_lshrrev_b32 v15, 5, v2 :: v_dual_add_nc_u32 v1, 32, v0
	s_mov_b32 s19, exec_lo
	s_delay_alu instid0(VALU_DEP_1) | instskip(NEXT) | instid1(VALU_DEP_2)
	v_dual_mov_b32 v4, 0 :: v_dual_add_nc_u32 v16, -1, v15
	v_mov_b64_e32 v[2:3], v[0:1]
	s_delay_alu instid0(VALU_DEP_2)
	v_cmpx_lt_u32_e32 1, v16
	s_cbranch_execz .LBB3_18
; %bb.15:
	s_abs_i32 s20, s12
	v_lshl_add_u32 v17, v0, 2, 0
	s_cvt_f32_u32 s2, s20
	s_sub_co_i32 s3, 0, s20
	s_mov_b32 s5, 0
	v_add_nc_u32_e32 v4, 64, v9
	v_rcp_iflag_f32_e32 v2, s2
	s_mov_b32 s21, s5
	s_mov_b32 s22, s5
	v_nop
	s_delay_alu instid0(TRANS32_DEP_1) | instskip(SKIP_2) | instid1(VALU_DEP_1)
	v_readfirstlane_b32 s2, v2
	v_dual_mov_b32 v7, 0 :: v_dual_lshrrev_b32 v2, 1, v16
	s_mul_f32 s2, s2, 0x4f7ffffe
	v_add_nc_u32_e32 v6, 1, v2
	v_mov_b64_e32 v[2:3], v[0:1]
	v_mov_b32_e32 v1, v4
	s_cvt_u32_f32 s2, s2
	s_delay_alu instid0(VALU_DEP_3) | instskip(NEXT) | instid1(SALU_CYCLE_2)
	v_and_b32_e32 v18, -2, v6
	s_mul_i32 s3, s3, s2
	s_delay_alu instid0(SALU_CYCLE_1) | instskip(NEXT) | instid1(SALU_CYCLE_1)
	s_mul_hi_u32 s3, s2, s3
	s_add_co_i32 s4, s2, s3
.LBB3_16:                               ; =>This Inner Loop Header: Depth=1
	ds_load_2addr_b32 v[20:21], v17 offset1:32
	ds_load_2addr_b32 v[24:25], v17 offset0:64 offset1:96
	v_dual_mov_b32 v23, v7 :: v_dual_add_nc_u32 v31, v2, v9
	v_dual_mov_b32 v27, v7 :: v_dual_add_nc_u32 v18, -2, v18
	s_add_co_i32 s22, s22, 4
	v_dual_add_nc_u32 v30, v3, v9 :: v_dual_add_nc_u32 v33, v2, v4
	v_dual_mov_b32 v19, s22 :: v_dual_add_nc_u32 v32, v3, v1
	s_delay_alu instid0(VALU_DEP_3)
	v_cmp_eq_u32_e32 vcc_lo, 0, v18
	s_or_b32 s21, vcc_lo, s21
	s_wait_dscnt 0x1
	v_dual_lshrrev_b32 v6, 22, v20 :: v_dual_lshrrev_b32 v22, 22, v21
	v_and_b32_e32 v34, 0x3fffff, v21
	v_and_b32_e32 v35, 0x3fffff, v20
	s_wait_dscnt 0x0
	v_and_b32_e32 v36, 0x3fffff, v25
	v_mul_u64_e32 v[20:21], s[4:5], v[6:7]
	v_mul_u64_e32 v[28:29], s[4:5], v[22:23]
	v_and_b32_e32 v37, 0x3fffff, v24
	v_lshl_add_u32 v23, v35, 3, v6
	s_delay_alu instid0(VALU_DEP_4) | instskip(NEXT) | instid1(VALU_DEP_1)
	v_mul_lo_u32 v20, v21, s20
	v_dual_lshrrev_b32 v26, 22, v25 :: v_dual_sub_nc_u32 v28, v6, v20
	s_delay_alu instid0(VALU_DEP_1) | instskip(SKIP_1) | instid1(VALU_DEP_3)
	v_mul_u64_e32 v[20:21], s[4:5], v[26:27]
	v_mul_lo_u32 v20, v29, s20
	v_cmp_le_u32_e64 s3, s20, v28
	s_delay_alu instid0(VALU_DEP_3) | instskip(NEXT) | instid1(VALU_DEP_1)
	v_mul_lo_u32 v21, v21, s20
	v_dual_lshrrev_b32 v6, 22, v24 :: v_dual_sub_nc_u32 v21, v26, v21
	s_delay_alu instid0(VALU_DEP_1) | instskip(SKIP_2) | instid1(VALU_DEP_4)
	v_mul_u64_e32 v[24:25], s[4:5], v[6:7]
	v_subrev_nc_u32_e32 v24, s20, v28
	v_lshl_add_u32 v26, v36, 3, v26
	v_subrev_nc_u32_e32 v29, s20, v21
	v_cmp_le_u32_e64 s2, s20, v21
	v_sub_nc_u32_e32 v20, v22, v20
	v_lshl_add_u32 v22, v34, 3, v22
	s_delay_alu instid0(VALU_DEP_3) | instskip(NEXT) | instid1(VALU_DEP_3)
	v_cndmask_b32_e64 v21, v21, v29, s2
	v_subrev_nc_u32_e32 v27, s20, v20
	v_cmp_le_u32_e32 vcc_lo, s20, v20
	v_add_nc_u32_e32 v17, 0x200, v17
	s_delay_alu instid0(VALU_DEP_4) | instskip(SKIP_2) | instid1(VALU_DEP_2)
	v_subrev_nc_u32_e32 v29, s20, v21
	v_cmp_le_u32_e64 s2, s20, v21
	v_cndmask_b32_e64 v24, v28, v24, s3
	v_dual_cndmask_b32 v20, v20, v27, vcc_lo :: v_dual_cndmask_b32 v21, v21, v29, s2
	s_delay_alu instid0(VALU_DEP_2) | instskip(SKIP_1) | instid1(VALU_DEP_3)
	v_subrev_nc_u32_e32 v27, s20, v24
	v_cmp_le_u32_e64 s3, s20, v24
	v_subrev_nc_u32_e32 v28, s20, v20
	v_cmp_le_u32_e32 vcc_lo, s20, v20
	v_add_nc_u32_e32 v3, 0x80, v3
	v_mad_u32 v21, v36, s14, v21
	s_delay_alu instid0(VALU_DEP_4) | instskip(SKIP_2) | instid1(VALU_DEP_3)
	v_cndmask_b32_e32 v20, v20, v28, vcc_lo
	v_mul_lo_u32 v25, v25, s20
	v_cndmask_b32_e64 v24, v24, v27, s3
	v_mad_u32 v20, v34, s14, v20
	s_delay_alu instid0(VALU_DEP_3) | instskip(NEXT) | instid1(VALU_DEP_3)
	v_sub_nc_u32_e32 v25, v6, v25
	v_mad_u32 v24, v35, s14, v24
	v_lshl_add_u32 v6, v37, 3, v6
	s_delay_alu instid0(VALU_DEP_3) | instskip(SKIP_1) | instid1(VALU_DEP_2)
	v_subrev_nc_u32_e32 v27, s20, v25
	v_cmp_le_u32_e32 vcc_lo, s20, v25
	v_dual_cndmask_b32 v25, v25, v27 :: v_dual_add_nc_u32 v2, 0x80, v2
	s_delay_alu instid0(VALU_DEP_1) | instskip(SKIP_1) | instid1(VALU_DEP_2)
	v_subrev_nc_u32_e32 v27, s20, v25
	v_cmp_le_u32_e32 vcc_lo, s20, v25
	v_cndmask_b32_e32 v25, v25, v27, vcc_lo
	s_delay_alu instid0(VALU_DEP_1)
	v_mad_u32 v25, v37, s14, v25
	s_clause 0x1
	global_store_b32 v31, v24, s[8:9] scale_offset
	global_store_b32 v31, v23, s[10:11] scale_offset
	s_clause 0x1
	global_store_b32 v30, v20, s[8:9] scale_offset
	global_store_b32 v30, v22, s[10:11] scale_offset
	;; [unrolled: 3-line block ×4, first 2 shown]
	s_wait_xcnt 0x0
	s_and_not1_b32 exec_lo, exec_lo, s21
	s_cbranch_execnz .LBB3_16
; %bb.17:
	s_or_b32 exec_lo, exec_lo, s21
	v_lshlrev_b32_e32 v4, 5, v19
.LBB3_18:
	s_or_b32 exec_lo, exec_lo, s19
	v_and_b32_e32 v1, 2, v16
	s_mov_b32 s2, exec_lo
	s_delay_alu instid0(VALU_DEP_1)
	v_cmpx_eq_u32_e32 0, v1
	s_cbranch_execz .LBB3_20
; %bb.19:
	v_add_nc_u32_e32 v1, v0, v4
	s_abs_i32 s3, s12
	v_add_nc_u32_e32 v3, v3, v9
	s_cvt_f32_u32 s4, s3
	s_sub_co_i32 s5, 0, s3
	v_lshl_add_u32 v1, v1, 2, 0
	v_add_nc_u32_e32 v2, v2, v9
	v_rcp_iflag_f32_e32 v4, s4
	ds_load_2addr_b32 v[6:7], v1 offset1:32
	v_nop
	v_readfirstlane_b32 s4, v4
	s_mul_f32 s4, s4, 0x4f7ffffe
	s_delay_alu instid0(SALU_CYCLE_3) | instskip(NEXT) | instid1(SALU_CYCLE_3)
	s_cvt_u32_f32 s4, s4
	s_mul_i32 s5, s5, s4
	s_delay_alu instid0(SALU_CYCLE_1) | instskip(SKIP_4) | instid1(VALU_DEP_2)
	s_mul_hi_u32 s5, s4, s5
	s_wait_dscnt 0x0
	v_lshrrev_b32_e32 v4, 22, v7
	s_add_co_i32 s4, s4, s5
	v_and_b32_e32 v7, 0x3fffff, v7
	v_mul_hi_u32 v17, v4, s4
	s_delay_alu instid0(VALU_DEP_1) | instskip(SKIP_2) | instid1(VALU_DEP_3)
	v_mul_lo_u32 v17, v17, s3
	v_lshrrev_b32_e32 v1, 22, v6
	v_and_b32_e32 v6, 0x3fffff, v6
	v_sub_nc_u32_e32 v17, v4, v17
	s_delay_alu instid0(VALU_DEP_3) | instskip(SKIP_1) | instid1(VALU_DEP_3)
	v_mul_hi_u32 v16, v1, s4
	v_lshl_add_u32 v4, v7, 3, v4
	v_subrev_nc_u32_e32 v19, s3, v17
	s_delay_alu instid0(VALU_DEP_3) | instskip(NEXT) | instid1(VALU_DEP_1)
	v_mul_lo_u32 v16, v16, s3
	v_sub_nc_u32_e32 v16, v1, v16
	v_lshl_add_u32 v1, v6, 3, v1
	s_delay_alu instid0(VALU_DEP_2) | instskip(SKIP_1) | instid1(VALU_DEP_2)
	v_subrev_nc_u32_e32 v18, s3, v16
	v_cmp_le_u32_e32 vcc_lo, s3, v16
	v_cndmask_b32_e32 v16, v16, v18, vcc_lo
	v_cmp_le_u32_e32 vcc_lo, s3, v17
	v_cndmask_b32_e32 v17, v17, v19, vcc_lo
	s_delay_alu instid0(VALU_DEP_3) | instskip(SKIP_1) | instid1(VALU_DEP_3)
	v_subrev_nc_u32_e32 v18, s3, v16
	v_cmp_le_u32_e32 vcc_lo, s3, v16
	v_subrev_nc_u32_e32 v19, s3, v17
	s_delay_alu instid0(VALU_DEP_3) | instskip(SKIP_1) | instid1(VALU_DEP_3)
	v_cndmask_b32_e32 v16, v16, v18, vcc_lo
	v_cmp_le_u32_e32 vcc_lo, s3, v17
	v_cndmask_b32_e32 v17, v17, v19, vcc_lo
	s_delay_alu instid0(VALU_DEP_3) | instskip(NEXT) | instid1(VALU_DEP_2)
	v_mad_u32 v16, v6, s14, v16
	v_mad_u32 v17, v7, s14, v17
	s_clause 0x1
	global_store_b32 v2, v16, s[8:9] scale_offset
	global_store_b32 v2, v1, s[10:11] scale_offset
	s_clause 0x1
	global_store_b32 v3, v17, s[8:9] scale_offset
	global_store_b32 v3, v4, s[10:11] scale_offset
.LBB3_20:
	s_wait_xcnt 0x0
	s_or_b32 exec_lo, exec_lo, s2
	v_add_nc_u32_e32 v1, 1, v15
	s_delay_alu instid0(VALU_DEP_1) | instskip(NEXT) | instid1(VALU_DEP_1)
	v_and_b32_e32 v2, 0xffffffe, v1
	v_cmp_ne_u32_e32 vcc_lo, v1, v2
	v_lshl_add_u32 v1, v2, 5, v0
	s_or_not1_b32 s2, vcc_lo, exec_lo
.LBB3_21:
	s_or_b32 exec_lo, exec_lo, s18
	s_delay_alu instid0(SALU_CYCLE_1) | instskip(SKIP_1) | instid1(SALU_CYCLE_1)
	s_and_not1_b32 s3, s16, exec_lo
	s_and_b32 s2, s2, exec_lo
	s_or_b32 s16, s3, s2
.LBB3_22:
	s_or_b32 exec_lo, exec_lo, s17
	s_delay_alu instid0(SALU_CYCLE_1)
	s_and_b32 exec_lo, exec_lo, s16
	s_cbranch_execz .LBB3_25
; %bb.23:
	s_abs_i32 s4, s12
	v_lshl_add_u32 v4, v1, 2, 0
	s_cvt_f32_u32 s2, s4
	s_sub_co_i32 s3, 0, s4
	v_mov_b32_e32 v3, 0
	s_delay_alu instid0(SALU_CYCLE_1) | instskip(SKIP_1) | instid1(TRANS32_DEP_1)
	v_rcp_iflag_f32_e32 v2, s2
	v_nop
	v_readfirstlane_b32 s2, v2
	v_add3_u32 v2, v10, v11, v12
	s_mul_f32 s2, s2, 0x4f7ffffe
	s_delay_alu instid0(VALU_DEP_1) | instskip(NEXT) | instid1(SALU_CYCLE_2)
	v_add3_u32 v2, v2, v13, v14
	s_cvt_u32_f32 s2, s2
	s_delay_alu instid0(VALU_DEP_1) | instskip(NEXT) | instid1(SALU_CYCLE_2)
	v_add3_u32 v6, v2, v1, v8
	s_mul_i32 s3, s3, s2
	s_delay_alu instid0(SALU_CYCLE_1)
	s_mul_hi_u32 s5, s2, s3
	s_mov_b32 s3, 0
	s_add_co_i32 s2, s2, s5
	s_mov_b32 s5, s3
.LBB3_24:                               ; =>This Inner Loop Header: Depth=1
	ds_load_b32 v7, v4
	v_add_nc_u32_e32 v4, 0x80, v4
	s_wait_dscnt 0x0
	v_dual_add_nc_u32 v1, 32, v1 :: v_dual_lshrrev_b32 v2, 22, v7
	v_and_b32_e32 v7, 0x3fffff, v7
	s_delay_alu instid0(VALU_DEP_2) | instskip(NEXT) | instid1(VALU_DEP_1)
	v_mul_u64_e32 v[10:11], s[2:3], v[2:3]
	v_mul_lo_u32 v8, v11, s4
	s_delay_alu instid0(VALU_DEP_1) | instskip(NEXT) | instid1(VALU_DEP_1)
	v_sub_nc_u32_e32 v8, v2, v8
	v_subrev_nc_u32_e32 v10, s4, v8
	v_cmp_le_u32_e32 vcc_lo, s4, v8
	s_delay_alu instid0(VALU_DEP_2) | instskip(SKIP_1) | instid1(VALU_DEP_2)
	v_cndmask_b32_e32 v8, v8, v10, vcc_lo
	v_lshl_add_u32 v2, v7, 3, v2
	v_subrev_nc_u32_e32 v10, s4, v8
	v_cmp_le_u32_e32 vcc_lo, s4, v8
	s_delay_alu instid0(VALU_DEP_2) | instskip(SKIP_1) | instid1(VALU_DEP_2)
	v_cndmask_b32_e32 v8, v8, v10, vcc_lo
	v_cmp_ge_i32_e32 vcc_lo, v1, v5
	v_mad_u32 v8, v7, s14, v8
	s_or_b32 s5, vcc_lo, s5
	s_clause 0x1
	global_store_b32 v6, v8, s[8:9] scale_offset
	global_store_b32 v6, v2, s[10:11] scale_offset
	s_wait_xcnt 0x0
	v_add_nc_u32_e32 v6, 32, v6
	s_and_not1_b32 exec_lo, exec_lo, s5
	s_cbranch_execnz .LBB3_24
.LBB3_25:
	s_or_b32 exec_lo, exec_lo, s13
	s_delay_alu instid0(SALU_CYCLE_1)
	s_mov_b32 s2, exec_lo
	v_cmpx_eq_u32_e32 0, v0
	s_cbranch_execz .LBB3_28
; %bb.26:
	s_load_b32 s0, s[0:1], 0x38
	v_mov_b32_e32 v0, s15
	global_store_b32 v0, v9, s[6:7] scale_offset
	s_wait_kmcnt 0x0
	s_add_co_i32 s1, s0, -1
	s_delay_alu instid0(SALU_CYCLE_1)
	s_cmp_lt_i32 s15, s1
	s_cbranch_scc1 .LBB3_28
; %bb.27:
	s_wait_xcnt 0x0
	v_dual_mov_b32 v1, s0 :: v_dual_add_nc_u32 v0, v9, v5
	global_store_b32 v1, v0, s[6:7] scale_offset
.LBB3_28:
	s_endpgm
	.section	.rodata,"a",@progbits
	.p2align	6, 0x0
	.amdhsa_kernel _ZL13mm_ids_helperILi8EEvPKiPiS2_S2_iiiii
		.amdhsa_group_segment_fixed_size 0
		.amdhsa_private_segment_fixed_size 0
		.amdhsa_kernarg_size 312
		.amdhsa_user_sgpr_count 2
		.amdhsa_user_sgpr_dispatch_ptr 0
		.amdhsa_user_sgpr_queue_ptr 0
		.amdhsa_user_sgpr_kernarg_segment_ptr 1
		.amdhsa_user_sgpr_dispatch_id 0
		.amdhsa_user_sgpr_kernarg_preload_length 0
		.amdhsa_user_sgpr_kernarg_preload_offset 0
		.amdhsa_user_sgpr_private_segment_size 0
		.amdhsa_wavefront_size32 1
		.amdhsa_uses_dynamic_stack 0
		.amdhsa_enable_private_segment 0
		.amdhsa_system_sgpr_workgroup_id_x 1
		.amdhsa_system_sgpr_workgroup_id_y 0
		.amdhsa_system_sgpr_workgroup_id_z 0
		.amdhsa_system_sgpr_workgroup_info 0
		.amdhsa_system_vgpr_workitem_id 0
		.amdhsa_next_free_vgpr 38
		.amdhsa_next_free_sgpr 23
		.amdhsa_named_barrier_count 0
		.amdhsa_reserve_vcc 1
		.amdhsa_float_round_mode_32 0
		.amdhsa_float_round_mode_16_64 0
		.amdhsa_float_denorm_mode_32 3
		.amdhsa_float_denorm_mode_16_64 3
		.amdhsa_fp16_overflow 0
		.amdhsa_memory_ordered 1
		.amdhsa_forward_progress 1
		.amdhsa_inst_pref_size 21
		.amdhsa_round_robin_scheduling 0
		.amdhsa_exception_fp_ieee_invalid_op 0
		.amdhsa_exception_fp_denorm_src 0
		.amdhsa_exception_fp_ieee_div_zero 0
		.amdhsa_exception_fp_ieee_overflow 0
		.amdhsa_exception_fp_ieee_underflow 0
		.amdhsa_exception_fp_ieee_inexact 0
		.amdhsa_exception_int_div_zero 0
	.end_amdhsa_kernel
	.section	.text._ZL13mm_ids_helperILi8EEvPKiPiS2_S2_iiiii,"axG",@progbits,_ZL13mm_ids_helperILi8EEvPKiPiS2_S2_iiiii,comdat
.Lfunc_end3:
	.size	_ZL13mm_ids_helperILi8EEvPKiPiS2_S2_iiiii, .Lfunc_end3-_ZL13mm_ids_helperILi8EEvPKiPiS2_S2_iiiii
                                        ; -- End function
	.set _ZL13mm_ids_helperILi8EEvPKiPiS2_S2_iiiii.num_vgpr, 38
	.set _ZL13mm_ids_helperILi8EEvPKiPiS2_S2_iiiii.num_agpr, 0
	.set _ZL13mm_ids_helperILi8EEvPKiPiS2_S2_iiiii.numbered_sgpr, 23
	.set _ZL13mm_ids_helperILi8EEvPKiPiS2_S2_iiiii.num_named_barrier, 0
	.set _ZL13mm_ids_helperILi8EEvPKiPiS2_S2_iiiii.private_seg_size, 0
	.set _ZL13mm_ids_helperILi8EEvPKiPiS2_S2_iiiii.uses_vcc, 1
	.set _ZL13mm_ids_helperILi8EEvPKiPiS2_S2_iiiii.uses_flat_scratch, 0
	.set _ZL13mm_ids_helperILi8EEvPKiPiS2_S2_iiiii.has_dyn_sized_stack, 0
	.set _ZL13mm_ids_helperILi8EEvPKiPiS2_S2_iiiii.has_recursion, 0
	.set _ZL13mm_ids_helperILi8EEvPKiPiS2_S2_iiiii.has_indirect_call, 0
	.section	.AMDGPU.csdata,"",@progbits
; Kernel info:
; codeLenInByte = 2584
; TotalNumSgprs: 25
; NumVgprs: 38
; ScratchSize: 0
; MemoryBound: 0
; FloatMode: 240
; IeeeMode: 1
; LDSByteSize: 0 bytes/workgroup (compile time only)
; SGPRBlocks: 0
; VGPRBlocks: 2
; NumSGPRsForWavesPerEU: 25
; NumVGPRsForWavesPerEU: 38
; NamedBarCnt: 0
; Occupancy: 16
; WaveLimiterHint : 0
; COMPUTE_PGM_RSRC2:SCRATCH_EN: 0
; COMPUTE_PGM_RSRC2:USER_SGPR: 2
; COMPUTE_PGM_RSRC2:TRAP_HANDLER: 0
; COMPUTE_PGM_RSRC2:TGID_X_EN: 1
; COMPUTE_PGM_RSRC2:TGID_Y_EN: 0
; COMPUTE_PGM_RSRC2:TGID_Z_EN: 0
; COMPUTE_PGM_RSRC2:TIDIG_COMP_CNT: 0
	.section	.text._ZL13mm_ids_helperILi16EEvPKiPiS2_S2_iiiii,"axG",@progbits,_ZL13mm_ids_helperILi16EEvPKiPiS2_S2_iiiii,comdat
	.globl	_ZL13mm_ids_helperILi16EEvPKiPiS2_S2_iiiii ; -- Begin function _ZL13mm_ids_helperILi16EEvPKiPiS2_S2_iiiii
	.p2align	8
	.type	_ZL13mm_ids_helperILi16EEvPKiPiS2_S2_iiiii,@function
_ZL13mm_ids_helperILi16EEvPKiPiS2_S2_iiiii: ; @_ZL13mm_ids_helperILi16EEvPKiPiS2_S2_iiiii
; %bb.0:
	s_load_b32 s16, s[0:1], 0x20
	s_bfe_u32 s2, ttmp6, 0x4000c
	s_and_b32 s3, ttmp6, 15
	s_add_co_i32 s2, s2, 1
	s_getreg_b32 s4, hwreg(HW_REG_IB_STS2, 6, 4)
	s_mul_i32 s2, ttmp9, s2
	v_mbcnt_lo_u32_b32 v4, -1, 0
	s_add_co_i32 s3, s3, s2
	s_cmp_eq_u32 s4, 0
	s_mov_b32 s2, 0
	s_cselect_b32 s11, ttmp9, s3
	s_wait_kmcnt 0x0
	s_cmp_gt_i32 s16, 0
	s_cbranch_scc1 .LBB4_2
; %bb.1:
	v_mbcnt_lo_u32_b32 v9, -1, 0
	s_delay_alu instid0(VALU_DEP_1)
	v_dual_mov_b32 v7, 0 :: v_dual_bitop2_b32 v1, 8, v9 bitop3:0x14
	v_xor_b32_e32 v2, 4, v9
	v_xor_b32_e32 v3, 2, v9
	;; [unrolled: 1-line block ×3, first 2 shown]
	s_branch .LBB4_3
.LBB4_2:
	s_mov_b32 s2, -1
                                        ; implicit-def: $vgpr9
                                        ; implicit-def: $vgpr7
                                        ; implicit-def: $vgpr1
                                        ; implicit-def: $vgpr2
                                        ; implicit-def: $vgpr3
                                        ; implicit-def: $vgpr6
.LBB4_3:
	s_clause 0x2
	s_load_b128 s[4:7], s[0:1], 0x8
	s_load_b64 s[12:13], s[0:1], 0x18
	s_load_b96 s[8:10], s[0:1], 0x28
	v_dual_mov_b32 v8, 0 :: v_dual_mov_b32 v5, 0
	s_and_not1_b32 vcc_lo, exec_lo, s2
	s_cbranch_vccnz .LBB4_11
; %bb.4:
	v_dual_mov_b32 v7, 0 :: v_dual_bitop2_b32 v2, 16, v4 bitop3:0x40
	v_lshrrev_b32_e32 v9, 4, v0
	v_dual_add_nc_u32 v14, -16, v4 :: v_dual_bitop2_b32 v6, 1, v4 bitop3:0x14
	s_delay_alu instid0(VALU_DEP_3)
	v_dual_add_nc_u32 v5, 16, v2 :: v_dual_bitop2_b32 v3, 2, v4 bitop3:0x14
	v_xor_b32_e32 v2, 4, v4
	v_xor_b32_e32 v1, 8, v4
	s_load_b64 s[14:15], s[0:1], 0x0
	v_cmp_gt_u32_e64 s2, 16, v0
	v_mov_b32_e32 v18, 0
	v_mov_b32_e32 v16, 0x7c
	v_cmp_lt_i32_e32 vcc_lo, v1, v5
	v_dual_cndmask_b32 v10, v4, v1, vcc_lo :: v_dual_bitop2_b32 v8, 15, v0 bitop3:0x40
	v_cmp_lt_i32_e32 vcc_lo, v2, v5
	s_wait_kmcnt 0x0
	s_delay_alu instid0(VALU_DEP_2) | instskip(SKIP_3) | instid1(VALU_DEP_2)
	v_mad_u32 v15, s9, v9, v8
	s_lshl_b32 s9, s9, 1
	v_cndmask_b32_e32 v11, v4, v2, vcc_lo
	v_cmp_lt_i32_e32 vcc_lo, v3, v5
	v_dual_lshlrev_b32 v10, 2, v10 :: v_dual_lshlrev_b32 v11, 2, v11
	v_cndmask_b32_e32 v12, v4, v3, vcc_lo
	v_cmp_lt_i32_e32 vcc_lo, v6, v5
	v_cndmask_b32_e32 v5, v4, v6, vcc_lo
	v_cmp_gt_i32_e32 vcc_lo, 0, v14
	s_delay_alu instid0(VALU_DEP_2) | instskip(SKIP_2) | instid1(VALU_DEP_2)
	v_dual_lshlrev_b32 v12, 2, v12 :: v_dual_lshlrev_b32 v13, 2, v5
	v_cndmask_b32_e32 v5, v14, v4, vcc_lo
	v_dual_lshlrev_b32 v14, 22, v8 :: v_dual_mov_b32 v8, 0
	v_dual_lshlrev_b32 v17, 2, v5 :: v_dual_mov_b32 v5, 0
	s_branch .LBB4_6
.LBB4_5:                                ;   in Loop: Header=BB4_6 Depth=1
	s_or_b32 exec_lo, exec_lo, s3
	s_delay_alu instid0(VALU_DEP_1)
	v_dual_add_nc_u32 v20, v22, v21 :: v_dual_add_nc_u32 v18, 2, v18
	v_cmp_gt_i32_e64 s3, s11, v19
	v_add_nc_u32_e32 v15, s9, v15
	ds_bpermute_b32 v20, v16, v20
	v_cmp_le_i32_e32 vcc_lo, s16, v18
	v_add_co_ci_u32_e64 v8, null, 0, v8, s3
	s_wait_dscnt 0x0
	v_add_nc_u32_e32 v5, v20, v5
	s_cbranch_vccnz .LBB4_10
.LBB4_6:                                ; =>This Inner Loop Header: Depth=1
	v_add_nc_u32_e32 v20, v9, v18
	v_bfrev_b32_e32 v19, -2
	s_mov_b32 s3, exec_lo
	s_delay_alu instid0(VALU_DEP_2)
	v_cmpx_gt_i32_e64 s16, v20
	s_cbranch_execz .LBB4_8
; %bb.7:                                ;   in Loop: Header=BB4_6 Depth=1
	global_load_b32 v19, v15, s[14:15] scale_offset
.LBB4_8:                                ;   in Loop: Header=BB4_6 Depth=1
	s_wait_xcnt 0x0
	s_or_b32 exec_lo, exec_lo, s3
	s_wait_loadcnt 0x0
	v_cmp_eq_u32_e32 vcc_lo, s11, v19
	v_cndmask_b32_e64 v21, 0, 1, vcc_lo
	ds_bpermute_b32 v22, v10, v21
	s_wait_dscnt 0x0
	v_or_b32_e32 v21, v22, v21
	s_delay_alu instid0(VALU_DEP_1) | instskip(NEXT) | instid1(VALU_DEP_1)
	v_cmp_ne_u32_e64 s3, 0, v21
	v_cndmask_b32_e64 v22, 0, 1, s3
	ds_bpermute_b32 v22, v11, v22
	s_wait_dscnt 0x0
	v_or_b32_e32 v21, v22, v21
	s_delay_alu instid0(VALU_DEP_1) | instskip(NEXT) | instid1(VALU_DEP_1)
	v_cmp_ne_u32_e64 s3, 0, v21
	v_cndmask_b32_e64 v22, 0, 1, s3
	;; [unrolled: 6-line block ×4, first 2 shown]
	ds_bpermute_b32 v22, v17, v21
	s_wait_dscnt 0x0
	v_cndmask_b32_e64 v22, v22, 0, s2
	s_and_saveexec_b32 s3, vcc_lo
	s_cbranch_execz .LBB4_5
; %bb.9:                                ;   in Loop: Header=BB4_6 Depth=1
	s_delay_alu instid0(VALU_DEP_1) | instskip(SKIP_1) | instid1(VALU_DEP_2)
	v_dual_lshlrev_b32 v23, 2, v5 :: v_dual_lshlrev_b32 v24, 2, v22
	v_and_or_b32 v20, 0x3fffff, v20, v14
	v_add3_u32 v23, 0, v23, v24
	ds_store_b32 v23, v20
	s_branch .LBB4_5
.LBB4_10:
	v_mov_b32_e32 v9, v4
.LBB4_11:
	s_delay_alu instid0(VALU_DEP_1) | instskip(SKIP_2) | instid1(VALU_DEP_1)
	v_dual_add_nc_u32 v4, 32, v7 :: v_dual_bitop2_b32 v7, 16, v9 bitop3:0x14
	s_wait_kmcnt 0x0
	s_mov_b32 s9, exec_lo
	v_cmp_lt_i32_e32 vcc_lo, v7, v4
	v_cndmask_b32_e32 v7, v9, v7, vcc_lo
	v_cmp_lt_i32_e32 vcc_lo, v1, v4
	s_delay_alu instid0(VALU_DEP_2) | instskip(SKIP_1) | instid1(VALU_DEP_2)
	v_dual_cndmask_b32 v1, v9, v1, vcc_lo :: v_dual_lshlrev_b32 v7, 2, v7
	v_cmp_lt_i32_e32 vcc_lo, v2, v4
	v_lshlrev_b32_e32 v1, 2, v1
	ds_bpermute_b32 v10, v7, v8
	s_wait_dscnt 0x0
	v_add_nc_u32_e32 v7, v10, v8
	ds_bpermute_b32 v11, v1, v7
	v_cndmask_b32_e32 v1, v9, v2, vcc_lo
	v_cmp_lt_i32_e32 vcc_lo, v3, v4
	s_wait_dscnt 0x0
	s_delay_alu instid0(VALU_DEP_2) | instskip(SKIP_4) | instid1(VALU_DEP_2)
	v_dual_lshlrev_b32 v1, 2, v1 :: v_dual_add_nc_u32 v2, v11, v7
	ds_bpermute_b32 v12, v1, v2
	v_cndmask_b32_e32 v1, v9, v3, vcc_lo
	v_cmp_lt_i32_e32 vcc_lo, v6, v4
	s_wait_dscnt 0x0
	v_dual_add_nc_u32 v2, v12, v2 :: v_dual_lshlrev_b32 v1, 2, v1
	ds_bpermute_b32 v13, v1, v2
	v_cndmask_b32_e32 v1, v9, v6, vcc_lo
	s_wait_dscnt 0x0
	s_delay_alu instid0(VALU_DEP_1)
	v_dual_add_nc_u32 v2, v13, v2 :: v_dual_lshlrev_b32 v1, 2, v1
	ds_bpermute_b32 v14, v1, v2
	s_wait_dscnt 0x0
	v_add_nc_u32_e32 v9, v14, v2
	v_cmpx_lt_i32_e64 v0, v5
	s_cbranch_execz .LBB4_25
; %bb.12:
	v_xad_u32 v2, v0, -1, v5
	v_mov_b32_e32 v1, v0
	s_mov_b32 s2, -1
	s_mov_b32 s17, exec_lo
	s_delay_alu instid0(VALU_DEP_2)
	v_cmp_gt_u32_e64 s16, 0x1a0, v2
	v_cmpx_lt_u32_e32 0x19f, v2
	s_cbranch_execz .LBB4_22
; %bb.13:
	v_and_b32_e32 v1, 0xffffffe0, v2
	v_add_nc_u32_e32 v3, v9, v0
	s_delay_alu instid0(VALU_DEP_1) | instskip(NEXT) | instid1(VALU_DEP_1)
	v_add_nc_u32_e32 v1, v3, v1
	v_cmp_ge_i32_e32 vcc_lo, v1, v3
	v_mov_b32_e32 v1, v0
	s_and_saveexec_b32 s18, vcc_lo
	s_cbranch_execz .LBB4_21
; %bb.14:
	v_dual_lshrrev_b32 v15, 5, v2 :: v_dual_add_nc_u32 v1, 32, v0
	s_mov_b32 s19, exec_lo
	s_delay_alu instid0(VALU_DEP_1) | instskip(NEXT) | instid1(VALU_DEP_2)
	v_dual_mov_b32 v4, 0 :: v_dual_add_nc_u32 v16, -1, v15
	v_mov_b64_e32 v[2:3], v[0:1]
	s_delay_alu instid0(VALU_DEP_2)
	v_cmpx_lt_u32_e32 1, v16
	s_cbranch_execz .LBB4_18
; %bb.15:
	s_abs_i32 s20, s8
	v_lshl_add_u32 v17, v0, 2, 0
	s_cvt_f32_u32 s2, s20
	s_sub_co_i32 s3, 0, s20
	s_mov_b32 s15, 0
	v_add_nc_u32_e32 v4, 64, v9
	v_rcp_iflag_f32_e32 v2, s2
	s_mov_b32 s21, s15
	s_mov_b32 s22, s15
	v_nop
	s_delay_alu instid0(TRANS32_DEP_1) | instskip(SKIP_2) | instid1(VALU_DEP_1)
	v_readfirstlane_b32 s2, v2
	v_dual_mov_b32 v7, 0 :: v_dual_lshrrev_b32 v2, 1, v16
	s_mul_f32 s2, s2, 0x4f7ffffe
	v_add_nc_u32_e32 v6, 1, v2
	v_mov_b64_e32 v[2:3], v[0:1]
	v_mov_b32_e32 v1, v4
	s_cvt_u32_f32 s2, s2
	s_delay_alu instid0(VALU_DEP_3) | instskip(NEXT) | instid1(SALU_CYCLE_2)
	v_and_b32_e32 v18, -2, v6
	s_mul_i32 s3, s3, s2
	s_delay_alu instid0(SALU_CYCLE_1) | instskip(NEXT) | instid1(SALU_CYCLE_1)
	s_mul_hi_u32 s3, s2, s3
	s_add_co_i32 s14, s2, s3
.LBB4_16:                               ; =>This Inner Loop Header: Depth=1
	ds_load_2addr_b32 v[20:21], v17 offset1:32
	ds_load_2addr_b32 v[24:25], v17 offset0:64 offset1:96
	v_dual_mov_b32 v23, v7 :: v_dual_add_nc_u32 v31, v2, v9
	v_dual_mov_b32 v27, v7 :: v_dual_add_nc_u32 v18, -2, v18
	s_add_co_i32 s22, s22, 4
	v_dual_add_nc_u32 v30, v3, v9 :: v_dual_add_nc_u32 v33, v2, v4
	v_dual_mov_b32 v19, s22 :: v_dual_add_nc_u32 v32, v3, v1
	s_delay_alu instid0(VALU_DEP_3)
	v_cmp_eq_u32_e32 vcc_lo, 0, v18
	s_or_b32 s21, vcc_lo, s21
	s_wait_dscnt 0x1
	v_dual_lshrrev_b32 v6, 22, v20 :: v_dual_lshrrev_b32 v22, 22, v21
	v_and_b32_e32 v34, 0x3fffff, v21
	v_and_b32_e32 v35, 0x3fffff, v20
	s_wait_dscnt 0x0
	v_and_b32_e32 v36, 0x3fffff, v25
	v_mul_u64_e32 v[20:21], s[14:15], v[6:7]
	v_mul_u64_e32 v[28:29], s[14:15], v[22:23]
	v_and_b32_e32 v37, 0x3fffff, v24
	v_lshl_add_u32 v23, v35, 4, v6
	s_delay_alu instid0(VALU_DEP_4) | instskip(NEXT) | instid1(VALU_DEP_1)
	v_mul_lo_u32 v20, v21, s20
	v_dual_lshrrev_b32 v26, 22, v25 :: v_dual_sub_nc_u32 v28, v6, v20
	s_delay_alu instid0(VALU_DEP_1) | instskip(SKIP_1) | instid1(VALU_DEP_3)
	v_mul_u64_e32 v[20:21], s[14:15], v[26:27]
	v_mul_lo_u32 v20, v29, s20
	v_cmp_le_u32_e64 s3, s20, v28
	s_delay_alu instid0(VALU_DEP_3) | instskip(NEXT) | instid1(VALU_DEP_1)
	v_mul_lo_u32 v21, v21, s20
	v_dual_lshrrev_b32 v6, 22, v24 :: v_dual_sub_nc_u32 v21, v26, v21
	s_delay_alu instid0(VALU_DEP_1) | instskip(SKIP_2) | instid1(VALU_DEP_4)
	v_mul_u64_e32 v[24:25], s[14:15], v[6:7]
	v_subrev_nc_u32_e32 v24, s20, v28
	v_lshl_add_u32 v26, v36, 4, v26
	v_subrev_nc_u32_e32 v29, s20, v21
	v_cmp_le_u32_e64 s2, s20, v21
	v_sub_nc_u32_e32 v20, v22, v20
	v_lshl_add_u32 v22, v34, 4, v22
	s_delay_alu instid0(VALU_DEP_3) | instskip(NEXT) | instid1(VALU_DEP_3)
	v_cndmask_b32_e64 v21, v21, v29, s2
	v_subrev_nc_u32_e32 v27, s20, v20
	v_cmp_le_u32_e32 vcc_lo, s20, v20
	v_add_nc_u32_e32 v17, 0x200, v17
	s_delay_alu instid0(VALU_DEP_4) | instskip(SKIP_2) | instid1(VALU_DEP_2)
	v_subrev_nc_u32_e32 v29, s20, v21
	v_cmp_le_u32_e64 s2, s20, v21
	v_cndmask_b32_e64 v24, v28, v24, s3
	v_dual_cndmask_b32 v20, v20, v27, vcc_lo :: v_dual_cndmask_b32 v21, v21, v29, s2
	s_delay_alu instid0(VALU_DEP_2) | instskip(SKIP_1) | instid1(VALU_DEP_3)
	v_subrev_nc_u32_e32 v27, s20, v24
	v_cmp_le_u32_e64 s3, s20, v24
	v_subrev_nc_u32_e32 v28, s20, v20
	v_cmp_le_u32_e32 vcc_lo, s20, v20
	v_add_nc_u32_e32 v3, 0x80, v3
	v_mad_u32 v21, v36, s10, v21
	s_delay_alu instid0(VALU_DEP_4) | instskip(SKIP_2) | instid1(VALU_DEP_3)
	v_cndmask_b32_e32 v20, v20, v28, vcc_lo
	v_mul_lo_u32 v25, v25, s20
	v_cndmask_b32_e64 v24, v24, v27, s3
	v_mad_u32 v20, v34, s10, v20
	s_delay_alu instid0(VALU_DEP_3) | instskip(NEXT) | instid1(VALU_DEP_3)
	v_sub_nc_u32_e32 v25, v6, v25
	v_mad_u32 v24, v35, s10, v24
	v_lshl_add_u32 v6, v37, 4, v6
	s_delay_alu instid0(VALU_DEP_3) | instskip(SKIP_1) | instid1(VALU_DEP_2)
	v_subrev_nc_u32_e32 v27, s20, v25
	v_cmp_le_u32_e32 vcc_lo, s20, v25
	v_dual_cndmask_b32 v25, v25, v27 :: v_dual_add_nc_u32 v2, 0x80, v2
	s_delay_alu instid0(VALU_DEP_1) | instskip(SKIP_1) | instid1(VALU_DEP_2)
	v_subrev_nc_u32_e32 v27, s20, v25
	v_cmp_le_u32_e32 vcc_lo, s20, v25
	v_cndmask_b32_e32 v25, v25, v27, vcc_lo
	s_delay_alu instid0(VALU_DEP_1)
	v_mad_u32 v25, v37, s10, v25
	s_clause 0x1
	global_store_b32 v31, v24, s[4:5] scale_offset
	global_store_b32 v31, v23, s[6:7] scale_offset
	s_clause 0x1
	global_store_b32 v30, v20, s[4:5] scale_offset
	global_store_b32 v30, v22, s[6:7] scale_offset
	;; [unrolled: 3-line block ×4, first 2 shown]
	s_wait_xcnt 0x0
	s_and_not1_b32 exec_lo, exec_lo, s21
	s_cbranch_execnz .LBB4_16
; %bb.17:
	s_or_b32 exec_lo, exec_lo, s21
	v_lshlrev_b32_e32 v4, 5, v19
.LBB4_18:
	s_or_b32 exec_lo, exec_lo, s19
	v_and_b32_e32 v1, 2, v16
	s_mov_b32 s2, exec_lo
	s_delay_alu instid0(VALU_DEP_1)
	v_cmpx_eq_u32_e32 0, v1
	s_cbranch_execz .LBB4_20
; %bb.19:
	v_add_nc_u32_e32 v1, v0, v4
	s_abs_i32 s3, s8
	v_add_nc_u32_e32 v3, v3, v9
	s_cvt_f32_u32 s14, s3
	s_sub_co_i32 s15, 0, s3
	v_lshl_add_u32 v1, v1, 2, 0
	v_add_nc_u32_e32 v2, v2, v9
	v_rcp_iflag_f32_e32 v4, s14
	ds_load_2addr_b32 v[6:7], v1 offset1:32
	v_nop
	v_readfirstlane_b32 s14, v4
	s_mul_f32 s14, s14, 0x4f7ffffe
	s_delay_alu instid0(SALU_CYCLE_3) | instskip(NEXT) | instid1(SALU_CYCLE_3)
	s_cvt_u32_f32 s14, s14
	s_mul_i32 s15, s15, s14
	s_delay_alu instid0(SALU_CYCLE_1) | instskip(SKIP_4) | instid1(VALU_DEP_2)
	s_mul_hi_u32 s15, s14, s15
	s_wait_dscnt 0x0
	v_lshrrev_b32_e32 v4, 22, v7
	s_add_co_i32 s14, s14, s15
	v_and_b32_e32 v7, 0x3fffff, v7
	v_mul_hi_u32 v17, v4, s14
	s_delay_alu instid0(VALU_DEP_1) | instskip(SKIP_2) | instid1(VALU_DEP_3)
	v_mul_lo_u32 v17, v17, s3
	v_lshrrev_b32_e32 v1, 22, v6
	v_and_b32_e32 v6, 0x3fffff, v6
	v_sub_nc_u32_e32 v17, v4, v17
	s_delay_alu instid0(VALU_DEP_3) | instskip(SKIP_1) | instid1(VALU_DEP_3)
	v_mul_hi_u32 v16, v1, s14
	v_lshl_add_u32 v4, v7, 4, v4
	v_subrev_nc_u32_e32 v19, s3, v17
	s_delay_alu instid0(VALU_DEP_3) | instskip(NEXT) | instid1(VALU_DEP_1)
	v_mul_lo_u32 v16, v16, s3
	v_sub_nc_u32_e32 v16, v1, v16
	v_lshl_add_u32 v1, v6, 4, v1
	s_delay_alu instid0(VALU_DEP_2) | instskip(SKIP_1) | instid1(VALU_DEP_2)
	v_subrev_nc_u32_e32 v18, s3, v16
	v_cmp_le_u32_e32 vcc_lo, s3, v16
	v_cndmask_b32_e32 v16, v16, v18, vcc_lo
	v_cmp_le_u32_e32 vcc_lo, s3, v17
	v_cndmask_b32_e32 v17, v17, v19, vcc_lo
	s_delay_alu instid0(VALU_DEP_3) | instskip(SKIP_1) | instid1(VALU_DEP_3)
	v_subrev_nc_u32_e32 v18, s3, v16
	v_cmp_le_u32_e32 vcc_lo, s3, v16
	v_subrev_nc_u32_e32 v19, s3, v17
	s_delay_alu instid0(VALU_DEP_3) | instskip(SKIP_1) | instid1(VALU_DEP_3)
	v_cndmask_b32_e32 v16, v16, v18, vcc_lo
	v_cmp_le_u32_e32 vcc_lo, s3, v17
	v_cndmask_b32_e32 v17, v17, v19, vcc_lo
	s_delay_alu instid0(VALU_DEP_3) | instskip(NEXT) | instid1(VALU_DEP_2)
	v_mad_u32 v16, v6, s10, v16
	v_mad_u32 v17, v7, s10, v17
	s_clause 0x1
	global_store_b32 v2, v16, s[4:5] scale_offset
	global_store_b32 v2, v1, s[6:7] scale_offset
	s_clause 0x1
	global_store_b32 v3, v17, s[4:5] scale_offset
	global_store_b32 v3, v4, s[6:7] scale_offset
.LBB4_20:
	s_wait_xcnt 0x0
	s_or_b32 exec_lo, exec_lo, s2
	v_add_nc_u32_e32 v1, 1, v15
	s_delay_alu instid0(VALU_DEP_1) | instskip(NEXT) | instid1(VALU_DEP_1)
	v_and_b32_e32 v2, 0xffffffe, v1
	v_cmp_ne_u32_e32 vcc_lo, v1, v2
	v_lshl_add_u32 v1, v2, 5, v0
	s_or_not1_b32 s2, vcc_lo, exec_lo
.LBB4_21:
	s_or_b32 exec_lo, exec_lo, s18
	s_delay_alu instid0(SALU_CYCLE_1) | instskip(SKIP_1) | instid1(SALU_CYCLE_1)
	s_and_not1_b32 s3, s16, exec_lo
	s_and_b32 s2, s2, exec_lo
	s_or_b32 s16, s3, s2
.LBB4_22:
	s_or_b32 exec_lo, exec_lo, s17
	s_delay_alu instid0(SALU_CYCLE_1)
	s_and_b32 exec_lo, exec_lo, s16
	s_cbranch_execz .LBB4_25
; %bb.23:
	s_abs_i32 s8, s8
	v_lshl_add_u32 v4, v1, 2, 0
	s_cvt_f32_u32 s2, s8
	s_sub_co_i32 s3, 0, s8
	v_mov_b32_e32 v3, 0
	s_delay_alu instid0(SALU_CYCLE_1) | instskip(SKIP_1) | instid1(TRANS32_DEP_1)
	v_rcp_iflag_f32_e32 v2, s2
	v_nop
	v_readfirstlane_b32 s2, v2
	v_add3_u32 v2, v10, v11, v12
	s_mul_f32 s2, s2, 0x4f7ffffe
	s_delay_alu instid0(VALU_DEP_1) | instskip(NEXT) | instid1(SALU_CYCLE_2)
	v_add3_u32 v2, v2, v13, v14
	s_cvt_u32_f32 s2, s2
	s_delay_alu instid0(VALU_DEP_1) | instskip(NEXT) | instid1(SALU_CYCLE_2)
	v_add3_u32 v6, v2, v1, v8
	s_mul_i32 s3, s3, s2
	s_delay_alu instid0(SALU_CYCLE_1)
	s_mul_hi_u32 s14, s2, s3
	s_mov_b32 s3, 0
	s_add_co_i32 s2, s2, s14
	s_mov_b32 s14, s3
.LBB4_24:                               ; =>This Inner Loop Header: Depth=1
	ds_load_b32 v7, v4
	v_add_nc_u32_e32 v4, 0x80, v4
	s_wait_dscnt 0x0
	v_dual_add_nc_u32 v1, 32, v1 :: v_dual_lshrrev_b32 v2, 22, v7
	v_and_b32_e32 v7, 0x3fffff, v7
	s_delay_alu instid0(VALU_DEP_2) | instskip(NEXT) | instid1(VALU_DEP_1)
	v_mul_u64_e32 v[10:11], s[2:3], v[2:3]
	v_mul_lo_u32 v8, v11, s8
	s_delay_alu instid0(VALU_DEP_1) | instskip(NEXT) | instid1(VALU_DEP_1)
	v_sub_nc_u32_e32 v8, v2, v8
	v_subrev_nc_u32_e32 v10, s8, v8
	v_cmp_le_u32_e32 vcc_lo, s8, v8
	s_delay_alu instid0(VALU_DEP_2) | instskip(SKIP_1) | instid1(VALU_DEP_2)
	v_cndmask_b32_e32 v8, v8, v10, vcc_lo
	v_lshl_add_u32 v2, v7, 4, v2
	v_subrev_nc_u32_e32 v10, s8, v8
	v_cmp_le_u32_e32 vcc_lo, s8, v8
	s_delay_alu instid0(VALU_DEP_2) | instskip(SKIP_1) | instid1(VALU_DEP_2)
	v_cndmask_b32_e32 v8, v8, v10, vcc_lo
	v_cmp_ge_i32_e32 vcc_lo, v1, v5
	v_mad_u32 v8, v7, s10, v8
	s_or_b32 s14, vcc_lo, s14
	s_clause 0x1
	global_store_b32 v6, v8, s[4:5] scale_offset
	global_store_b32 v6, v2, s[6:7] scale_offset
	s_wait_xcnt 0x0
	v_add_nc_u32_e32 v6, 32, v6
	s_and_not1_b32 exec_lo, exec_lo, s14
	s_cbranch_execnz .LBB4_24
.LBB4_25:
	s_or_b32 exec_lo, exec_lo, s9
	s_delay_alu instid0(SALU_CYCLE_1)
	s_mov_b32 s2, exec_lo
	v_cmpx_eq_u32_e32 0, v0
	s_cbranch_execz .LBB4_28
; %bb.26:
	s_load_b32 s0, s[0:1], 0x38
	v_mov_b32_e32 v0, s11
	global_store_b32 v0, v9, s[12:13] scale_offset
	s_wait_kmcnt 0x0
	s_add_co_i32 s1, s0, -1
	s_delay_alu instid0(SALU_CYCLE_1)
	s_cmp_lt_i32 s11, s1
	s_cbranch_scc1 .LBB4_28
; %bb.27:
	s_wait_xcnt 0x0
	v_dual_mov_b32 v1, s0 :: v_dual_add_nc_u32 v0, v9, v5
	global_store_b32 v1, v0, s[12:13] scale_offset
.LBB4_28:
	s_endpgm
	.section	.rodata,"a",@progbits
	.p2align	6, 0x0
	.amdhsa_kernel _ZL13mm_ids_helperILi16EEvPKiPiS2_S2_iiiii
		.amdhsa_group_segment_fixed_size 0
		.amdhsa_private_segment_fixed_size 0
		.amdhsa_kernarg_size 312
		.amdhsa_user_sgpr_count 2
		.amdhsa_user_sgpr_dispatch_ptr 0
		.amdhsa_user_sgpr_queue_ptr 0
		.amdhsa_user_sgpr_kernarg_segment_ptr 1
		.amdhsa_user_sgpr_dispatch_id 0
		.amdhsa_user_sgpr_kernarg_preload_length 0
		.amdhsa_user_sgpr_kernarg_preload_offset 0
		.amdhsa_user_sgpr_private_segment_size 0
		.amdhsa_wavefront_size32 1
		.amdhsa_uses_dynamic_stack 0
		.amdhsa_enable_private_segment 0
		.amdhsa_system_sgpr_workgroup_id_x 1
		.amdhsa_system_sgpr_workgroup_id_y 0
		.amdhsa_system_sgpr_workgroup_id_z 0
		.amdhsa_system_sgpr_workgroup_info 0
		.amdhsa_system_vgpr_workitem_id 0
		.amdhsa_next_free_vgpr 38
		.amdhsa_next_free_sgpr 23
		.amdhsa_named_barrier_count 0
		.amdhsa_reserve_vcc 1
		.amdhsa_float_round_mode_32 0
		.amdhsa_float_round_mode_16_64 0
		.amdhsa_float_denorm_mode_32 3
		.amdhsa_float_denorm_mode_16_64 3
		.amdhsa_fp16_overflow 0
		.amdhsa_memory_ordered 1
		.amdhsa_forward_progress 1
		.amdhsa_inst_pref_size 20
		.amdhsa_round_robin_scheduling 0
		.amdhsa_exception_fp_ieee_invalid_op 0
		.amdhsa_exception_fp_denorm_src 0
		.amdhsa_exception_fp_ieee_div_zero 0
		.amdhsa_exception_fp_ieee_overflow 0
		.amdhsa_exception_fp_ieee_underflow 0
		.amdhsa_exception_fp_ieee_inexact 0
		.amdhsa_exception_int_div_zero 0
	.end_amdhsa_kernel
	.section	.text._ZL13mm_ids_helperILi16EEvPKiPiS2_S2_iiiii,"axG",@progbits,_ZL13mm_ids_helperILi16EEvPKiPiS2_S2_iiiii,comdat
.Lfunc_end4:
	.size	_ZL13mm_ids_helperILi16EEvPKiPiS2_S2_iiiii, .Lfunc_end4-_ZL13mm_ids_helperILi16EEvPKiPiS2_S2_iiiii
                                        ; -- End function
	.set _ZL13mm_ids_helperILi16EEvPKiPiS2_S2_iiiii.num_vgpr, 38
	.set _ZL13mm_ids_helperILi16EEvPKiPiS2_S2_iiiii.num_agpr, 0
	.set _ZL13mm_ids_helperILi16EEvPKiPiS2_S2_iiiii.numbered_sgpr, 23
	.set _ZL13mm_ids_helperILi16EEvPKiPiS2_S2_iiiii.num_named_barrier, 0
	.set _ZL13mm_ids_helperILi16EEvPKiPiS2_S2_iiiii.private_seg_size, 0
	.set _ZL13mm_ids_helperILi16EEvPKiPiS2_S2_iiiii.uses_vcc, 1
	.set _ZL13mm_ids_helperILi16EEvPKiPiS2_S2_iiiii.uses_flat_scratch, 0
	.set _ZL13mm_ids_helperILi16EEvPKiPiS2_S2_iiiii.has_dyn_sized_stack, 0
	.set _ZL13mm_ids_helperILi16EEvPKiPiS2_S2_iiiii.has_recursion, 0
	.set _ZL13mm_ids_helperILi16EEvPKiPiS2_S2_iiiii.has_indirect_call, 0
	.section	.AMDGPU.csdata,"",@progbits
; Kernel info:
; codeLenInByte = 2536
; TotalNumSgprs: 25
; NumVgprs: 38
; ScratchSize: 0
; MemoryBound: 0
; FloatMode: 240
; IeeeMode: 1
; LDSByteSize: 0 bytes/workgroup (compile time only)
; SGPRBlocks: 0
; VGPRBlocks: 2
; NumSGPRsForWavesPerEU: 25
; NumVGPRsForWavesPerEU: 38
; NamedBarCnt: 0
; Occupancy: 16
; WaveLimiterHint : 0
; COMPUTE_PGM_RSRC2:SCRATCH_EN: 0
; COMPUTE_PGM_RSRC2:USER_SGPR: 2
; COMPUTE_PGM_RSRC2:TRAP_HANDLER: 0
; COMPUTE_PGM_RSRC2:TGID_X_EN: 1
; COMPUTE_PGM_RSRC2:TGID_Y_EN: 0
; COMPUTE_PGM_RSRC2:TGID_Z_EN: 0
; COMPUTE_PGM_RSRC2:TIDIG_COMP_CNT: 0
	.section	.text._ZL13mm_ids_helperILi32EEvPKiPiS2_S2_iiiii,"axG",@progbits,_ZL13mm_ids_helperILi32EEvPKiPiS2_S2_iiiii,comdat
	.globl	_ZL13mm_ids_helperILi32EEvPKiPiS2_S2_iiiii ; -- Begin function _ZL13mm_ids_helperILi32EEvPKiPiS2_S2_iiiii
	.p2align	8
	.type	_ZL13mm_ids_helperILi32EEvPKiPiS2_S2_iiiii,@function
_ZL13mm_ids_helperILi32EEvPKiPiS2_S2_iiiii: ; @_ZL13mm_ids_helperILi32EEvPKiPiS2_S2_iiiii
; %bb.0:
	s_load_b32 s14, s[0:1], 0x20
	s_bfe_u32 s2, ttmp6, 0x4000c
	s_and_b32 s3, ttmp6, 15
	s_add_co_i32 s2, s2, 1
	s_getreg_b32 s4, hwreg(HW_REG_IB_STS2, 6, 4)
	s_mul_i32 s2, ttmp9, s2
	v_mbcnt_lo_u32_b32 v1, -1, 0
	s_add_co_i32 s3, s3, s2
	s_cmp_eq_u32 s4, 0
	s_mov_b32 s2, 0
	s_cselect_b32 s11, ttmp9, s3
	s_wait_kmcnt 0x0
	s_cmp_gt_i32 s14, 0
	s_cbranch_scc1 .LBB5_2
; %bb.1:
	v_mbcnt_lo_u32_b32 v2, -1, 0
	s_branch .LBB5_3
.LBB5_2:
	s_mov_b32 s2, -1
                                        ; implicit-def: $vgpr2
.LBB5_3:
	s_clause 0x2
	s_load_b128 s[4:7], s[0:1], 0x8
	s_load_b64 s[12:13], s[0:1], 0x18
	s_load_b96 s[8:10], s[0:1], 0x28
	v_dual_mov_b32 v8, 0 :: v_dual_mov_b32 v5, 0
	s_and_not1_b32 vcc_lo, exec_lo, s2
	s_cbranch_vccnz .LBB5_11
; %bb.4:
	s_load_b64 s[2:3], s[0:1], 0x0
	v_dual_mov_b32 v2, 0 :: v_dual_lshlrev_b32 v3, 22, v0
	v_dual_mov_b32 v4, 0x7c :: v_dual_mov_b32 v5, 0
	v_dual_mov_b32 v6, v0 :: v_dual_mov_b32 v8, 0
	s_mov_b32 s15, s14
	s_branch .LBB5_6
.LBB5_5:                                ;   in Loop: Header=BB5_6 Depth=1
	s_or_b32 exec_lo, exec_lo, s16
	s_cmp_lg_u32 vcc_lo, 0
	v_cmp_gt_i32_e32 vcc_lo, s11, v7
	s_cselect_b32 s16, -1, 0
	v_add_nc_u32_e32 v2, 1, v2
	v_cndmask_b32_e64 v9, 0, 1, s16
	s_add_co_i32 s15, s15, -1
	v_add_co_ci_u32_e64 v8, null, 0, v8, vcc_lo
	s_cmp_eq_u32 s15, 0
	ds_bpermute_b32 v9, v4, v9
	s_wait_dscnt 0x0
	s_wait_kmcnt 0x0
	v_dual_add_nc_u32 v6, s9, v6 :: v_dual_add_nc_u32 v5, v9, v5
	s_cbranch_scc1 .LBB5_10
.LBB5_6:                                ; =>This Inner Loop Header: Depth=1
	v_bfrev_b32_e32 v7, -2
	s_mov_b32 s16, exec_lo
	v_cmpx_gt_i32_e64 s14, v2
	s_cbranch_execz .LBB5_8
; %bb.7:                                ;   in Loop: Header=BB5_6 Depth=1
	s_wait_kmcnt 0x0
	global_load_b32 v7, v6, s[2:3] scale_offset
.LBB5_8:                                ;   in Loop: Header=BB5_6 Depth=1
	s_wait_xcnt 0x0
	s_or_b32 exec_lo, exec_lo, s16
	s_wait_loadcnt 0x0
	v_cmp_eq_u32_e32 vcc_lo, s11, v7
	s_and_saveexec_b32 s16, vcc_lo
	s_cbranch_execz .LBB5_5
; %bb.9:                                ;   in Loop: Header=BB5_6 Depth=1
	v_lshl_add_u32 v9, v5, 2, 0
	v_and_or_b32 v10, 0x3fffff, v2, v3
	ds_store_b32 v9, v10
	s_branch .LBB5_5
.LBB5_10:
	v_mov_b32_e32 v2, v1
.LBB5_11:
	s_delay_alu instid0(VALU_DEP_1) | instskip(SKIP_3) | instid1(VALU_DEP_2)
	v_and_b32_e32 v1, 0xffffffe0, v2
	v_xor_b32_e32 v3, 16, v2
	s_wait_kmcnt 0x0
	s_mov_b32 s9, exec_lo
	v_add_nc_u32_e32 v1, 32, v1
	s_delay_alu instid0(VALU_DEP_1) | instskip(SKIP_1) | instid1(VALU_DEP_1)
	v_cmp_lt_i32_e32 vcc_lo, v3, v1
	v_cndmask_b32_e32 v3, v2, v3, vcc_lo
	v_lshlrev_b32_e32 v3, 2, v3
	ds_bpermute_b32 v10, v3, v8
	v_xor_b32_e32 v3, 8, v2
	s_delay_alu instid0(VALU_DEP_1) | instskip(SKIP_2) | instid1(VALU_DEP_1)
	v_cmp_lt_i32_e32 vcc_lo, v3, v1
	v_cndmask_b32_e32 v3, v2, v3, vcc_lo
	s_wait_dscnt 0x0
	v_dual_lshlrev_b32 v3, 2, v3 :: v_dual_add_nc_u32 v4, v10, v8
	ds_bpermute_b32 v11, v3, v4
	v_xor_b32_e32 v3, 4, v2
	s_delay_alu instid0(VALU_DEP_1) | instskip(SKIP_2) | instid1(VALU_DEP_1)
	v_cmp_lt_i32_e32 vcc_lo, v3, v1
	v_cndmask_b32_e32 v3, v2, v3, vcc_lo
	s_wait_dscnt 0x0
	v_dual_lshlrev_b32 v3, 2, v3 :: v_dual_add_nc_u32 v4, v11, v4
	;; [unrolled: 7-line block ×4, first 2 shown]
	ds_bpermute_b32 v14, v1, v2
	s_wait_dscnt 0x0
	v_add_nc_u32_e32 v9, v14, v2
	v_cmpx_lt_i32_e64 v0, v5
	s_cbranch_execz .LBB5_25
; %bb.12:
	v_xad_u32 v2, v0, -1, v5
	v_mov_b32_e32 v1, v0
	s_mov_b32 s2, -1
	s_mov_b32 s17, exec_lo
	s_delay_alu instid0(VALU_DEP_2)
	v_cmp_gt_u32_e64 s16, 0x1a0, v2
	v_cmpx_lt_u32_e32 0x19f, v2
	s_cbranch_execz .LBB5_22
; %bb.13:
	v_and_b32_e32 v1, 0xffffffe0, v2
	v_add_nc_u32_e32 v3, v9, v0
	s_delay_alu instid0(VALU_DEP_1) | instskip(NEXT) | instid1(VALU_DEP_1)
	v_add_nc_u32_e32 v1, v3, v1
	v_cmp_ge_i32_e32 vcc_lo, v1, v3
	v_mov_b32_e32 v1, v0
	s_and_saveexec_b32 s18, vcc_lo
	s_cbranch_execz .LBB5_21
; %bb.14:
	v_dual_lshrrev_b32 v15, 5, v2 :: v_dual_add_nc_u32 v1, 32, v0
	s_mov_b32 s19, exec_lo
	s_delay_alu instid0(VALU_DEP_1) | instskip(NEXT) | instid1(VALU_DEP_2)
	v_dual_mov_b32 v4, 0 :: v_dual_add_nc_u32 v16, -1, v15
	v_mov_b64_e32 v[2:3], v[0:1]
	s_delay_alu instid0(VALU_DEP_2)
	v_cmpx_lt_u32_e32 1, v16
	s_cbranch_execz .LBB5_18
; %bb.15:
	s_abs_i32 s20, s8
	v_lshl_add_u32 v17, v0, 2, 0
	s_cvt_f32_u32 s2, s20
	s_sub_co_i32 s3, 0, s20
	s_mov_b32 s15, 0
	v_add_nc_u32_e32 v4, 64, v9
	v_rcp_iflag_f32_e32 v2, s2
	s_mov_b32 s21, s15
	s_mov_b32 s22, s15
	v_nop
	s_delay_alu instid0(TRANS32_DEP_1) | instskip(SKIP_2) | instid1(VALU_DEP_1)
	v_readfirstlane_b32 s2, v2
	v_dual_mov_b32 v7, 0 :: v_dual_lshrrev_b32 v2, 1, v16
	s_mul_f32 s2, s2, 0x4f7ffffe
	v_add_nc_u32_e32 v6, 1, v2
	v_mov_b64_e32 v[2:3], v[0:1]
	v_mov_b32_e32 v1, v4
	s_cvt_u32_f32 s2, s2
	s_delay_alu instid0(VALU_DEP_3) | instskip(NEXT) | instid1(SALU_CYCLE_2)
	v_and_b32_e32 v18, -2, v6
	s_mul_i32 s3, s3, s2
	s_delay_alu instid0(SALU_CYCLE_1) | instskip(NEXT) | instid1(SALU_CYCLE_1)
	s_mul_hi_u32 s3, s2, s3
	s_add_co_i32 s14, s2, s3
.LBB5_16:                               ; =>This Inner Loop Header: Depth=1
	ds_load_2addr_b32 v[20:21], v17 offset1:32
	ds_load_2addr_b32 v[24:25], v17 offset0:64 offset1:96
	v_dual_mov_b32 v23, v7 :: v_dual_add_nc_u32 v31, v2, v9
	v_dual_mov_b32 v27, v7 :: v_dual_add_nc_u32 v18, -2, v18
	s_add_co_i32 s22, s22, 4
	v_dual_add_nc_u32 v30, v3, v9 :: v_dual_add_nc_u32 v33, v2, v4
	v_dual_mov_b32 v19, s22 :: v_dual_add_nc_u32 v32, v3, v1
	s_delay_alu instid0(VALU_DEP_3)
	v_cmp_eq_u32_e32 vcc_lo, 0, v18
	s_or_b32 s21, vcc_lo, s21
	s_wait_dscnt 0x1
	v_dual_lshrrev_b32 v6, 22, v20 :: v_dual_lshrrev_b32 v22, 22, v21
	v_and_b32_e32 v34, 0x3fffff, v21
	v_and_b32_e32 v35, 0x3fffff, v20
	s_wait_dscnt 0x0
	v_and_b32_e32 v36, 0x3fffff, v25
	v_mul_u64_e32 v[20:21], s[14:15], v[6:7]
	v_mul_u64_e32 v[28:29], s[14:15], v[22:23]
	v_and_b32_e32 v37, 0x3fffff, v24
	v_lshl_add_u32 v23, v35, 5, v6
	s_delay_alu instid0(VALU_DEP_4) | instskip(NEXT) | instid1(VALU_DEP_1)
	v_mul_lo_u32 v20, v21, s20
	v_dual_lshrrev_b32 v26, 22, v25 :: v_dual_sub_nc_u32 v28, v6, v20
	s_delay_alu instid0(VALU_DEP_1) | instskip(SKIP_1) | instid1(VALU_DEP_3)
	v_mul_u64_e32 v[20:21], s[14:15], v[26:27]
	v_mul_lo_u32 v20, v29, s20
	v_cmp_le_u32_e64 s3, s20, v28
	s_delay_alu instid0(VALU_DEP_3) | instskip(NEXT) | instid1(VALU_DEP_1)
	v_mul_lo_u32 v21, v21, s20
	v_dual_lshrrev_b32 v6, 22, v24 :: v_dual_sub_nc_u32 v21, v26, v21
	s_delay_alu instid0(VALU_DEP_1) | instskip(SKIP_2) | instid1(VALU_DEP_4)
	v_mul_u64_e32 v[24:25], s[14:15], v[6:7]
	v_subrev_nc_u32_e32 v24, s20, v28
	v_lshl_add_u32 v26, v36, 5, v26
	v_subrev_nc_u32_e32 v29, s20, v21
	v_cmp_le_u32_e64 s2, s20, v21
	v_sub_nc_u32_e32 v20, v22, v20
	v_lshl_add_u32 v22, v34, 5, v22
	s_delay_alu instid0(VALU_DEP_3) | instskip(NEXT) | instid1(VALU_DEP_3)
	v_cndmask_b32_e64 v21, v21, v29, s2
	v_subrev_nc_u32_e32 v27, s20, v20
	v_cmp_le_u32_e32 vcc_lo, s20, v20
	v_add_nc_u32_e32 v17, 0x200, v17
	s_delay_alu instid0(VALU_DEP_4) | instskip(SKIP_2) | instid1(VALU_DEP_2)
	v_subrev_nc_u32_e32 v29, s20, v21
	v_cmp_le_u32_e64 s2, s20, v21
	v_cndmask_b32_e64 v24, v28, v24, s3
	v_dual_cndmask_b32 v20, v20, v27, vcc_lo :: v_dual_cndmask_b32 v21, v21, v29, s2
	s_delay_alu instid0(VALU_DEP_2) | instskip(SKIP_1) | instid1(VALU_DEP_3)
	v_subrev_nc_u32_e32 v27, s20, v24
	v_cmp_le_u32_e64 s3, s20, v24
	v_subrev_nc_u32_e32 v28, s20, v20
	v_cmp_le_u32_e32 vcc_lo, s20, v20
	v_add_nc_u32_e32 v3, 0x80, v3
	v_mad_u32 v21, v36, s10, v21
	s_delay_alu instid0(VALU_DEP_4) | instskip(SKIP_2) | instid1(VALU_DEP_3)
	v_cndmask_b32_e32 v20, v20, v28, vcc_lo
	v_mul_lo_u32 v25, v25, s20
	v_cndmask_b32_e64 v24, v24, v27, s3
	v_mad_u32 v20, v34, s10, v20
	s_delay_alu instid0(VALU_DEP_3) | instskip(NEXT) | instid1(VALU_DEP_3)
	v_sub_nc_u32_e32 v25, v6, v25
	v_mad_u32 v24, v35, s10, v24
	v_lshl_add_u32 v6, v37, 5, v6
	s_delay_alu instid0(VALU_DEP_3) | instskip(SKIP_1) | instid1(VALU_DEP_2)
	v_subrev_nc_u32_e32 v27, s20, v25
	v_cmp_le_u32_e32 vcc_lo, s20, v25
	v_dual_cndmask_b32 v25, v25, v27 :: v_dual_add_nc_u32 v2, 0x80, v2
	s_delay_alu instid0(VALU_DEP_1) | instskip(SKIP_1) | instid1(VALU_DEP_2)
	v_subrev_nc_u32_e32 v27, s20, v25
	v_cmp_le_u32_e32 vcc_lo, s20, v25
	v_cndmask_b32_e32 v25, v25, v27, vcc_lo
	s_delay_alu instid0(VALU_DEP_1)
	v_mad_u32 v25, v37, s10, v25
	s_clause 0x1
	global_store_b32 v31, v24, s[4:5] scale_offset
	global_store_b32 v31, v23, s[6:7] scale_offset
	s_clause 0x1
	global_store_b32 v30, v20, s[4:5] scale_offset
	global_store_b32 v30, v22, s[6:7] scale_offset
	;; [unrolled: 3-line block ×4, first 2 shown]
	s_wait_xcnt 0x0
	s_and_not1_b32 exec_lo, exec_lo, s21
	s_cbranch_execnz .LBB5_16
; %bb.17:
	s_or_b32 exec_lo, exec_lo, s21
	v_lshlrev_b32_e32 v4, 5, v19
.LBB5_18:
	s_or_b32 exec_lo, exec_lo, s19
	v_and_b32_e32 v1, 2, v16
	s_mov_b32 s2, exec_lo
	s_delay_alu instid0(VALU_DEP_1)
	v_cmpx_eq_u32_e32 0, v1
	s_cbranch_execz .LBB5_20
; %bb.19:
	v_add_nc_u32_e32 v1, v0, v4
	s_abs_i32 s3, s8
	v_add_nc_u32_e32 v3, v3, v9
	s_cvt_f32_u32 s14, s3
	s_sub_co_i32 s15, 0, s3
	v_lshl_add_u32 v1, v1, 2, 0
	v_add_nc_u32_e32 v2, v2, v9
	v_rcp_iflag_f32_e32 v4, s14
	ds_load_2addr_b32 v[6:7], v1 offset1:32
	v_nop
	v_readfirstlane_b32 s14, v4
	s_mul_f32 s14, s14, 0x4f7ffffe
	s_delay_alu instid0(SALU_CYCLE_3) | instskip(NEXT) | instid1(SALU_CYCLE_3)
	s_cvt_u32_f32 s14, s14
	s_mul_i32 s15, s15, s14
	s_delay_alu instid0(SALU_CYCLE_1) | instskip(SKIP_4) | instid1(VALU_DEP_2)
	s_mul_hi_u32 s15, s14, s15
	s_wait_dscnt 0x0
	v_lshrrev_b32_e32 v4, 22, v7
	s_add_co_i32 s14, s14, s15
	v_and_b32_e32 v7, 0x3fffff, v7
	v_mul_hi_u32 v17, v4, s14
	s_delay_alu instid0(VALU_DEP_1) | instskip(SKIP_2) | instid1(VALU_DEP_3)
	v_mul_lo_u32 v17, v17, s3
	v_lshrrev_b32_e32 v1, 22, v6
	v_and_b32_e32 v6, 0x3fffff, v6
	v_sub_nc_u32_e32 v17, v4, v17
	s_delay_alu instid0(VALU_DEP_3) | instskip(SKIP_1) | instid1(VALU_DEP_3)
	v_mul_hi_u32 v16, v1, s14
	v_lshl_add_u32 v4, v7, 5, v4
	v_subrev_nc_u32_e32 v19, s3, v17
	s_delay_alu instid0(VALU_DEP_3) | instskip(NEXT) | instid1(VALU_DEP_1)
	v_mul_lo_u32 v16, v16, s3
	v_sub_nc_u32_e32 v16, v1, v16
	v_lshl_add_u32 v1, v6, 5, v1
	s_delay_alu instid0(VALU_DEP_2) | instskip(SKIP_1) | instid1(VALU_DEP_2)
	v_subrev_nc_u32_e32 v18, s3, v16
	v_cmp_le_u32_e32 vcc_lo, s3, v16
	v_cndmask_b32_e32 v16, v16, v18, vcc_lo
	v_cmp_le_u32_e32 vcc_lo, s3, v17
	v_cndmask_b32_e32 v17, v17, v19, vcc_lo
	s_delay_alu instid0(VALU_DEP_3) | instskip(SKIP_1) | instid1(VALU_DEP_3)
	v_subrev_nc_u32_e32 v18, s3, v16
	v_cmp_le_u32_e32 vcc_lo, s3, v16
	v_subrev_nc_u32_e32 v19, s3, v17
	s_delay_alu instid0(VALU_DEP_3) | instskip(SKIP_1) | instid1(VALU_DEP_3)
	v_cndmask_b32_e32 v16, v16, v18, vcc_lo
	v_cmp_le_u32_e32 vcc_lo, s3, v17
	v_cndmask_b32_e32 v17, v17, v19, vcc_lo
	s_delay_alu instid0(VALU_DEP_3) | instskip(NEXT) | instid1(VALU_DEP_2)
	v_mad_u32 v16, v6, s10, v16
	v_mad_u32 v17, v7, s10, v17
	s_clause 0x1
	global_store_b32 v2, v16, s[4:5] scale_offset
	global_store_b32 v2, v1, s[6:7] scale_offset
	s_clause 0x1
	global_store_b32 v3, v17, s[4:5] scale_offset
	global_store_b32 v3, v4, s[6:7] scale_offset
.LBB5_20:
	s_wait_xcnt 0x0
	s_or_b32 exec_lo, exec_lo, s2
	v_add_nc_u32_e32 v1, 1, v15
	s_delay_alu instid0(VALU_DEP_1) | instskip(NEXT) | instid1(VALU_DEP_1)
	v_and_b32_e32 v2, 0xffffffe, v1
	v_cmp_ne_u32_e32 vcc_lo, v1, v2
	v_lshl_add_u32 v1, v2, 5, v0
	s_or_not1_b32 s2, vcc_lo, exec_lo
.LBB5_21:
	s_or_b32 exec_lo, exec_lo, s18
	s_delay_alu instid0(SALU_CYCLE_1) | instskip(SKIP_1) | instid1(SALU_CYCLE_1)
	s_and_not1_b32 s3, s16, exec_lo
	s_and_b32 s2, s2, exec_lo
	s_or_b32 s16, s3, s2
.LBB5_22:
	s_or_b32 exec_lo, exec_lo, s17
	s_delay_alu instid0(SALU_CYCLE_1)
	s_and_b32 exec_lo, exec_lo, s16
	s_cbranch_execz .LBB5_25
; %bb.23:
	s_abs_i32 s8, s8
	v_lshl_add_u32 v4, v1, 2, 0
	s_cvt_f32_u32 s2, s8
	s_sub_co_i32 s3, 0, s8
	v_mov_b32_e32 v3, 0
	s_delay_alu instid0(SALU_CYCLE_1) | instskip(SKIP_1) | instid1(TRANS32_DEP_1)
	v_rcp_iflag_f32_e32 v2, s2
	v_nop
	v_readfirstlane_b32 s2, v2
	v_add3_u32 v2, v10, v11, v12
	s_mul_f32 s2, s2, 0x4f7ffffe
	s_delay_alu instid0(VALU_DEP_1) | instskip(NEXT) | instid1(SALU_CYCLE_2)
	v_add3_u32 v2, v2, v13, v14
	s_cvt_u32_f32 s2, s2
	s_delay_alu instid0(VALU_DEP_1) | instskip(NEXT) | instid1(SALU_CYCLE_2)
	v_add3_u32 v6, v2, v1, v8
	s_mul_i32 s3, s3, s2
	s_delay_alu instid0(SALU_CYCLE_1)
	s_mul_hi_u32 s14, s2, s3
	s_mov_b32 s3, 0
	s_add_co_i32 s2, s2, s14
	s_mov_b32 s14, s3
.LBB5_24:                               ; =>This Inner Loop Header: Depth=1
	ds_load_b32 v7, v4
	v_add_nc_u32_e32 v4, 0x80, v4
	s_wait_dscnt 0x0
	v_dual_add_nc_u32 v1, 32, v1 :: v_dual_lshrrev_b32 v2, 22, v7
	v_and_b32_e32 v7, 0x3fffff, v7
	s_delay_alu instid0(VALU_DEP_2) | instskip(NEXT) | instid1(VALU_DEP_1)
	v_mul_u64_e32 v[10:11], s[2:3], v[2:3]
	v_mul_lo_u32 v8, v11, s8
	s_delay_alu instid0(VALU_DEP_1) | instskip(NEXT) | instid1(VALU_DEP_1)
	v_sub_nc_u32_e32 v8, v2, v8
	v_subrev_nc_u32_e32 v10, s8, v8
	v_cmp_le_u32_e32 vcc_lo, s8, v8
	s_delay_alu instid0(VALU_DEP_2) | instskip(SKIP_1) | instid1(VALU_DEP_2)
	v_cndmask_b32_e32 v8, v8, v10, vcc_lo
	v_lshl_add_u32 v2, v7, 5, v2
	v_subrev_nc_u32_e32 v10, s8, v8
	v_cmp_le_u32_e32 vcc_lo, s8, v8
	s_delay_alu instid0(VALU_DEP_2) | instskip(SKIP_1) | instid1(VALU_DEP_2)
	v_cndmask_b32_e32 v8, v8, v10, vcc_lo
	v_cmp_ge_i32_e32 vcc_lo, v1, v5
	v_mad_u32 v8, v7, s10, v8
	s_or_b32 s14, vcc_lo, s14
	s_clause 0x1
	global_store_b32 v6, v8, s[4:5] scale_offset
	global_store_b32 v6, v2, s[6:7] scale_offset
	s_wait_xcnt 0x0
	v_add_nc_u32_e32 v6, 32, v6
	s_and_not1_b32 exec_lo, exec_lo, s14
	s_cbranch_execnz .LBB5_24
.LBB5_25:
	s_or_b32 exec_lo, exec_lo, s9
	s_delay_alu instid0(SALU_CYCLE_1)
	s_mov_b32 s2, exec_lo
	v_cmpx_eq_u32_e32 0, v0
	s_cbranch_execz .LBB5_28
; %bb.26:
	s_load_b32 s0, s[0:1], 0x38
	v_mov_b32_e32 v0, s11
	global_store_b32 v0, v9, s[12:13] scale_offset
	s_wait_kmcnt 0x0
	s_add_co_i32 s1, s0, -1
	s_delay_alu instid0(SALU_CYCLE_1)
	s_cmp_lt_i32 s11, s1
	s_cbranch_scc1 .LBB5_28
; %bb.27:
	s_wait_xcnt 0x0
	v_dual_mov_b32 v1, s0 :: v_dual_add_nc_u32 v0, v9, v5
	global_store_b32 v1, v0, s[12:13] scale_offset
.LBB5_28:
	s_endpgm
	.section	.rodata,"a",@progbits
	.p2align	6, 0x0
	.amdhsa_kernel _ZL13mm_ids_helperILi32EEvPKiPiS2_S2_iiiii
		.amdhsa_group_segment_fixed_size 0
		.amdhsa_private_segment_fixed_size 0
		.amdhsa_kernarg_size 312
		.amdhsa_user_sgpr_count 2
		.amdhsa_user_sgpr_dispatch_ptr 0
		.amdhsa_user_sgpr_queue_ptr 0
		.amdhsa_user_sgpr_kernarg_segment_ptr 1
		.amdhsa_user_sgpr_dispatch_id 0
		.amdhsa_user_sgpr_kernarg_preload_length 0
		.amdhsa_user_sgpr_kernarg_preload_offset 0
		.amdhsa_user_sgpr_private_segment_size 0
		.amdhsa_wavefront_size32 1
		.amdhsa_uses_dynamic_stack 0
		.amdhsa_enable_private_segment 0
		.amdhsa_system_sgpr_workgroup_id_x 1
		.amdhsa_system_sgpr_workgroup_id_y 0
		.amdhsa_system_sgpr_workgroup_id_z 0
		.amdhsa_system_sgpr_workgroup_info 0
		.amdhsa_system_vgpr_workitem_id 0
		.amdhsa_next_free_vgpr 38
		.amdhsa_next_free_sgpr 23
		.amdhsa_named_barrier_count 0
		.amdhsa_reserve_vcc 1
		.amdhsa_float_round_mode_32 0
		.amdhsa_float_round_mode_16_64 0
		.amdhsa_float_denorm_mode_32 3
		.amdhsa_float_denorm_mode_16_64 3
		.amdhsa_fp16_overflow 0
		.amdhsa_memory_ordered 1
		.amdhsa_forward_progress 1
		.amdhsa_inst_pref_size 18
		.amdhsa_round_robin_scheduling 0
		.amdhsa_exception_fp_ieee_invalid_op 0
		.amdhsa_exception_fp_denorm_src 0
		.amdhsa_exception_fp_ieee_div_zero 0
		.amdhsa_exception_fp_ieee_overflow 0
		.amdhsa_exception_fp_ieee_underflow 0
		.amdhsa_exception_fp_ieee_inexact 0
		.amdhsa_exception_int_div_zero 0
	.end_amdhsa_kernel
	.section	.text._ZL13mm_ids_helperILi32EEvPKiPiS2_S2_iiiii,"axG",@progbits,_ZL13mm_ids_helperILi32EEvPKiPiS2_S2_iiiii,comdat
.Lfunc_end5:
	.size	_ZL13mm_ids_helperILi32EEvPKiPiS2_S2_iiiii, .Lfunc_end5-_ZL13mm_ids_helperILi32EEvPKiPiS2_S2_iiiii
                                        ; -- End function
	.set _ZL13mm_ids_helperILi32EEvPKiPiS2_S2_iiiii.num_vgpr, 38
	.set _ZL13mm_ids_helperILi32EEvPKiPiS2_S2_iiiii.num_agpr, 0
	.set _ZL13mm_ids_helperILi32EEvPKiPiS2_S2_iiiii.numbered_sgpr, 23
	.set _ZL13mm_ids_helperILi32EEvPKiPiS2_S2_iiiii.num_named_barrier, 0
	.set _ZL13mm_ids_helperILi32EEvPKiPiS2_S2_iiiii.private_seg_size, 0
	.set _ZL13mm_ids_helperILi32EEvPKiPiS2_S2_iiiii.uses_vcc, 1
	.set _ZL13mm_ids_helperILi32EEvPKiPiS2_S2_iiiii.uses_flat_scratch, 0
	.set _ZL13mm_ids_helperILi32EEvPKiPiS2_S2_iiiii.has_dyn_sized_stack, 0
	.set _ZL13mm_ids_helperILi32EEvPKiPiS2_S2_iiiii.has_recursion, 0
	.set _ZL13mm_ids_helperILi32EEvPKiPiS2_S2_iiiii.has_indirect_call, 0
	.section	.AMDGPU.csdata,"",@progbits
; Kernel info:
; codeLenInByte = 2200
; TotalNumSgprs: 25
; NumVgprs: 38
; ScratchSize: 0
; MemoryBound: 0
; FloatMode: 240
; IeeeMode: 1
; LDSByteSize: 0 bytes/workgroup (compile time only)
; SGPRBlocks: 0
; VGPRBlocks: 2
; NumSGPRsForWavesPerEU: 25
; NumVGPRsForWavesPerEU: 38
; NamedBarCnt: 0
; Occupancy: 16
; WaveLimiterHint : 0
; COMPUTE_PGM_RSRC2:SCRATCH_EN: 0
; COMPUTE_PGM_RSRC2:USER_SGPR: 2
; COMPUTE_PGM_RSRC2:TRAP_HANDLER: 0
; COMPUTE_PGM_RSRC2:TGID_X_EN: 1
; COMPUTE_PGM_RSRC2:TGID_Y_EN: 0
; COMPUTE_PGM_RSRC2:TGID_Z_EN: 0
; COMPUTE_PGM_RSRC2:TIDIG_COMP_CNT: 0
	.section	.text._ZL13mm_ids_helperILi0EEvPKiPiS2_S2_iiiii,"axG",@progbits,_ZL13mm_ids_helperILi0EEvPKiPiS2_S2_iiiii,comdat
	.globl	_ZL13mm_ids_helperILi0EEvPKiPiS2_S2_iiiii ; -- Begin function _ZL13mm_ids_helperILi0EEvPKiPiS2_S2_iiiii
	.p2align	8
	.type	_ZL13mm_ids_helperILi0EEvPKiPiS2_S2_iiiii,@function
_ZL13mm_ids_helperILi0EEvPKiPiS2_S2_iiiii: ; @_ZL13mm_ids_helperILi0EEvPKiPiS2_S2_iiiii
; %bb.0:
	s_clause 0x3
	s_load_b128 s[8:11], s[0:1], 0x20
	s_load_b128 s[12:15], s[0:1], 0x8
	s_load_b64 s[6:7], s[0:1], 0x18
	s_load_b32 s21, s[0:1], 0x30
	s_bfe_u32 s2, ttmp6, 0x4000c
	s_and_b32 s3, ttmp6, 15
	s_add_co_i32 s2, s2, 1
	s_getreg_b32 s4, hwreg(HW_REG_IB_STS2, 6, 4)
	s_mul_i32 s2, ttmp9, s2
	v_mov_b32_e32 v6, v0
	s_add_co_i32 s3, s3, s2
	s_cmp_eq_u32 s4, 0
	s_mov_b32 s16, 0
	s_cselect_b32 s20, ttmp9, s3
	s_wait_kmcnt 0x0
	s_cmp_lt_i32 s8, 1
	s_cbranch_scc1 .LBB6_16
; %bb.1:
	v_xad_u32 v2, v0, -1, s9
	s_load_b64 s[18:19], s[0:1], 0x0
	s_mov_b32 s22, s20
	s_mov_b32 s23, 0
	;; [unrolled: 1-line block ×3, first 2 shown]
	v_dual_mov_b32 v8, 0 :: v_dual_lshrrev_b32 v1, 5, v2
	v_cmp_lt_u32_e64 s2, 31, v2
	v_cmp_gt_i32_e32 vcc_lo, s9, v0
	s_delay_alu instid0(VALU_DEP_3) | instskip(NEXT) | instid1(VALU_DEP_1)
	v_dual_add_nc_u32 v3, 1, v1 :: v_dual_bitop2_b32 v1, 32, v0 bitop3:0x54
	v_and_b32_e32 v7, 0xffffffe, v3
	s_delay_alu instid0(VALU_DEP_1)
	v_lshl_or_b32 v9, v7, 5, v0
	v_cmp_ne_u32_e64 s3, v3, v7
	s_branch .LBB6_3
.LBB6_2:                                ;   in Loop: Header=BB6_3 Depth=1
	s_or_b32 exec_lo, exec_lo, s5
	v_cndmask_b32_e64 v2, 0, 1, s4
	s_delay_alu instid0(VALU_DEP_1) | instskip(SKIP_2) | instid1(SALU_CYCLE_1)
	v_cmp_ne_u32_e64 s4, 0, v2
	s_cmp_lg_u32 s4, 0
	s_cselect_b32 s4, -1, 0
	s_cmp_lg_u32 s4, 0
	s_add_co_ci_u32 s23, s23, 0
	s_add_co_i32 s24, s24, 1
	s_add_co_i32 s16, s16, s11
	s_cmp_eq_u32 s24, s8
	s_cbranch_scc1 .LBB6_15
.LBB6_3:                                ; =>This Loop Header: Depth=1
                                        ;     Child Loop BB6_6 Depth 2
                                        ;     Child Loop BB6_10 Depth 2
	v_mov_b32_e32 v10, -1
	s_ashr_i32 s17, s16, 31
	s_and_saveexec_b32 s25, vcc_lo
	s_cbranch_execz .LBB6_13
; %bb.4:                                ;   in Loop: Header=BB6_3 Depth=1
	v_dual_mov_b32 v10, -1 :: v_dual_mov_b32 v2, v6
	s_mov_b32 s4, -1
	s_and_saveexec_b32 s26, s2
	s_cbranch_execz .LBB6_8
; %bb.5:                                ;   in Loop: Header=BB6_3 Depth=1
	v_mov_b64_e32 v[2:3], v[0:1]
	v_bfrev_b32_e32 v4, 1
	v_dual_mov_b32 v5, 0 :: v_dual_mov_b32 v10, v7
	v_bfrev_b32_e32 v11, 1
	s_mul_i32 s27, s24, s11
	s_mov_b32 s28, 0
	s_mov_b32 s29, s27
.LBB6_6:                                ;   Parent Loop BB6_3 Depth=1
                                        ; =>  This Inner Loop Header: Depth=2
	s_delay_alu instid0(SALU_CYCLE_1)
	v_dual_add_nc_u32 v12, s29, v3 :: v_dual_add_nc_u32 v13, s27, v2
	s_wait_kmcnt 0x0
	s_clause 0x1
	global_load_b32 v14, v12, s[18:19] scale_offset
	global_load_b32 v15, v13, s[18:19] scale_offset
	s_wait_loadcnt 0x1
	v_cmp_gt_i32_e64 s5, s22, v14
	s_delay_alu instid0(VALU_DEP_1) | instskip(SKIP_2) | instid1(VALU_DEP_1)
	v_add_co_ci_u32_e64 v5, null, 0, v5, s5
	s_wait_loadcnt 0x0
	v_cmp_gt_i32_e64 s5, s20, v15
	v_add_co_ci_u32_e64 v8, null, 0, v8, s5
	v_cmp_eq_u32_e64 s5, s22, v14
	s_delay_alu instid0(VALU_DEP_1) | instskip(SKIP_1) | instid1(VALU_DEP_2)
	v_dual_add_nc_u32 v10, -2, v10 :: v_dual_cndmask_b32 v11, v11, v3, s5
	v_cmp_eq_u32_e64 s5, s20, v15
	v_cmp_eq_u32_e64 s4, 0, v10
	s_delay_alu instid0(VALU_DEP_2)
	v_dual_add_nc_u32 v3, 64, v3 :: v_dual_cndmask_b32 v4, v4, v2, s5
	v_add_nc_u32_e32 v2, 64, v2
	s_or_b32 s28, s4, s28
	s_wait_xcnt 0x0
	s_and_not1_b32 exec_lo, exec_lo, s28
	s_cbranch_execnz .LBB6_6
; %bb.7:                                ;   in Loop: Header=BB6_3 Depth=1
	s_or_b32 exec_lo, exec_lo, s28
	v_max_i32_e32 v2, v4, v11
	s_delay_alu instid0(VALU_DEP_1) | instskip(NEXT) | instid1(VALU_DEP_1)
	v_cmp_ne_u32_e64 s4, 0x80000000, v2
	v_dual_add_nc_u32 v8, v8, v5 :: v_dual_cndmask_b32 v10, -1, v2, s4
	v_mov_b32_e32 v2, v9
	s_or_not1_b32 s4, s3, exec_lo
.LBB6_8:                                ;   in Loop: Header=BB6_3 Depth=1
	s_or_b32 exec_lo, exec_lo, s26
	s_and_saveexec_b32 s26, s4
	s_cbranch_execz .LBB6_12
; %bb.9:                                ;   in Loop: Header=BB6_3 Depth=1
	v_ashrrev_i32_e32 v3, 31, v2
	s_delay_alu instid0(VALU_DEP_1) | instskip(SKIP_2) | instid1(VALU_DEP_1)
	v_add_nc_u64_e32 v[4:5], s[16:17], v[2:3]
	s_mov_b32 s17, 0
	s_wait_kmcnt 0x0
	v_lshl_add_u64 v[4:5], v[4:5], 2, s[18:19]
.LBB6_10:                               ;   Parent Loop BB6_3 Depth=1
                                        ; =>  This Inner Loop Header: Depth=2
	global_load_b32 v3, v[4:5], off
	s_wait_xcnt 0x0
	v_add_nc_u64_e32 v[4:5], 0x80, v[4:5]
	s_wait_loadcnt 0x0
	v_cmp_eq_u32_e64 s4, s20, v3
	v_cmp_gt_i32_e64 s5, s20, v3
	s_delay_alu instid0(VALU_DEP_2) | instskip(NEXT) | instid1(VALU_DEP_2)
	v_dual_cndmask_b32 v10, v10, v2, s4 :: v_dual_add_nc_u32 v2, 32, v2
	v_add_co_ci_u32_e64 v8, null, 0, v8, s5
	s_delay_alu instid0(VALU_DEP_2) | instskip(SKIP_1) | instid1(SALU_CYCLE_1)
	v_cmp_le_i32_e64 s4, s9, v2
	s_or_b32 s17, s4, s17
	s_and_not1_b32 exec_lo, exec_lo, s17
	s_cbranch_execnz .LBB6_10
; %bb.11:                               ;   in Loop: Header=BB6_3 Depth=1
	s_or_b32 exec_lo, exec_lo, s17
.LBB6_12:                               ;   in Loop: Header=BB6_3 Depth=1
	s_delay_alu instid0(SALU_CYCLE_1)
	s_or_b32 exec_lo, exec_lo, s26
.LBB6_13:                               ;   in Loop: Header=BB6_3 Depth=1
	s_delay_alu instid0(SALU_CYCLE_1)
	s_or_b32 exec_lo, exec_lo, s25
	v_cmp_ne_u32_e64 s4, -1, v10
	s_and_saveexec_b32 s5, s4
	s_cbranch_execz .LBB6_2
; %bb.14:                               ;   in Loop: Header=BB6_3 Depth=1
	s_lshl_b32 s17, s23, 2
	s_and_b32 s25, s24, 0x3fffff
	s_add_co_i32 s17, s17, 0
	v_lshl_or_b32 v2, v10, 22, s25
	v_mov_b32_e32 v3, s17
	ds_store_b32 v3, v2
	s_branch .LBB6_2
.LBB6_15:
	v_mov_b32_e32 v5, s23
	s_branch .LBB6_17
.LBB6_16:
	v_dual_mov_b32 v8, 0 :: v_dual_mov_b32 v5, 0
.LBB6_17:
	v_mbcnt_lo_u32_b32 v1, -1, 0
	s_mov_b32 s8, exec_lo
	s_delay_alu instid0(VALU_DEP_1) | instskip(NEXT) | instid1(VALU_DEP_1)
	v_xor_b32_e32 v2, 16, v1
	v_cmp_gt_i32_e32 vcc_lo, 32, v2
	v_cndmask_b32_e32 v2, v1, v2, vcc_lo
	s_delay_alu instid0(VALU_DEP_1) | instskip(SKIP_2) | instid1(VALU_DEP_1)
	v_lshlrev_b32_e32 v2, 2, v2
	ds_bpermute_b32 v10, v2, v8
	v_xor_b32_e32 v2, 8, v1
	v_cmp_gt_i32_e32 vcc_lo, 32, v2
	v_cndmask_b32_e32 v2, v1, v2, vcc_lo
	s_wait_dscnt 0x0
	s_delay_alu instid0(VALU_DEP_1) | instskip(SKIP_2) | instid1(VALU_DEP_1)
	v_dual_lshlrev_b32 v2, 2, v2 :: v_dual_add_nc_u32 v3, v10, v8
	ds_bpermute_b32 v11, v2, v3
	v_xor_b32_e32 v2, 4, v1
	v_cmp_gt_i32_e32 vcc_lo, 32, v2
	v_cndmask_b32_e32 v2, v1, v2, vcc_lo
	s_wait_dscnt 0x0
	s_delay_alu instid0(VALU_DEP_1) | instskip(SKIP_2) | instid1(VALU_DEP_1)
	v_dual_lshlrev_b32 v2, 2, v2 :: v_dual_add_nc_u32 v3, v11, v3
	;; [unrolled: 7-line block ×3, first 2 shown]
	ds_bpermute_b32 v13, v2, v3
	v_xor_b32_e32 v2, 1, v1
	v_cmp_gt_i32_e32 vcc_lo, 32, v2
	v_cndmask_b32_e32 v1, v1, v2, vcc_lo
	s_wait_dscnt 0x0
	s_delay_alu instid0(VALU_DEP_1)
	v_dual_lshlrev_b32 v1, 2, v1 :: v_dual_add_nc_u32 v2, v13, v3
	ds_bpermute_b32 v14, v1, v2
	s_wait_dscnt 0x0
	v_add_nc_u32_e32 v9, v14, v2
	v_cmpx_lt_u32_e64 v0, v5
	s_cbranch_execz .LBB6_31
; %bb.18:
	v_xad_u32 v1, v0, -1, v5
	s_mov_b32 s16, exec_lo
	s_delay_alu instid0(VALU_DEP_1)
	v_cmp_gt_u32_e64 s11, 0x160, v1
	v_cmpx_lt_u32_e32 0x15f, v1
	s_cbranch_execz .LBB6_28
; %bb.19:
	v_and_b32_e32 v2, 0xffffffe0, v1
	v_add_nc_u32_e32 v3, v9, v0
	s_mov_b32 s2, -1
	s_mov_b32 s17, exec_lo
	s_delay_alu instid0(VALU_DEP_1) | instskip(NEXT) | instid1(VALU_DEP_1)
	v_add_nc_u32_e32 v2, v3, v2
	v_cmpx_ge_i32_e64 v2, v3
	s_cbranch_execz .LBB6_27
; %bb.20:
	v_dual_lshrrev_b32 v15, 5, v1 :: v_dual_bitop2_b32 v1, 32, v0 bitop3:0x54
	s_wait_kmcnt 0x0
	s_mov_b32 s18, exec_lo
	s_delay_alu instid0(VALU_DEP_1) | instskip(NEXT) | instid1(VALU_DEP_2)
	v_dual_mov_b32 v4, 0 :: v_dual_add_nc_u32 v16, -1, v15
	v_mov_b64_e32 v[2:3], v[0:1]
	s_delay_alu instid0(VALU_DEP_2)
	v_cmpx_lt_u32_e32 1, v16
	s_cbranch_execz .LBB6_24
; %bb.21:
	s_abs_i32 s19, s10
	v_lshl_add_u32 v17, v0, 2, 0
	s_cvt_f32_u32 s2, s19
	s_sub_co_i32 s3, 0, s19
	s_mov_b32 s5, 0
	v_add_nc_u32_e32 v4, 64, v9
	v_rcp_iflag_f32_e32 v2, s2
	s_mov_b32 s22, s5
	s_mov_b32 s23, s5
	v_nop
	s_delay_alu instid0(TRANS32_DEP_1) | instskip(SKIP_2) | instid1(VALU_DEP_1)
	v_readfirstlane_b32 s2, v2
	v_dual_mov_b32 v7, 0 :: v_dual_lshrrev_b32 v2, 1, v16
	s_mul_f32 s2, s2, 0x4f7ffffe
	v_add_nc_u32_e32 v6, 1, v2
	v_mov_b64_e32 v[2:3], v[0:1]
	v_mov_b32_e32 v1, v4
	s_cvt_u32_f32 s2, s2
	s_delay_alu instid0(VALU_DEP_3) | instskip(NEXT) | instid1(SALU_CYCLE_2)
	v_and_b32_e32 v18, -2, v6
	s_mul_i32 s3, s3, s2
	s_delay_alu instid0(SALU_CYCLE_1) | instskip(NEXT) | instid1(SALU_CYCLE_1)
	s_mul_hi_u32 s3, s2, s3
	s_add_co_i32 s4, s2, s3
.LBB6_22:                               ; =>This Inner Loop Header: Depth=1
	ds_load_2addr_b32 v[20:21], v17 offset1:32
	v_add_nc_u32_e32 v30, v3, v9
	ds_load_2addr_b32 v[24:25], v17 offset0:64 offset1:96
	v_dual_mov_b32 v23, v7 :: v_dual_add_nc_u32 v31, v2, v9
	v_dual_mov_b32 v29, v7 :: v_dual_add_nc_u32 v33, v2, v4
	v_dual_add_nc_u32 v32, v3, v1 :: v_dual_add_nc_u32 v18, -2, v18
	s_add_co_i32 s23, s23, 4
	s_delay_alu instid0(SALU_CYCLE_1)
	v_dual_mov_b32 v19, s23 :: v_dual_add_nc_u32 v2, 0x80, v2
	s_wait_dscnt 0x1
	v_dual_lshrrev_b32 v6, 22, v20 :: v_dual_lshrrev_b32 v22, 22, v21
	s_wait_dscnt 0x0
	v_lshrrev_b32_e32 v28, 22, v25
	v_and_b32_e32 v34, 0x3fffff, v21
	v_and_b32_e32 v35, 0x3fffff, v20
	v_mul_u64_e32 v[26:27], s[4:5], v[6:7]
	v_mul_u64_e32 v[20:21], s[4:5], v[22:23]
	v_and_b32_e32 v36, 0x3fffff, v25
	v_and_b32_e32 v37, 0x3fffff, v24
	s_delay_alu instid0(VALU_DEP_4) | instskip(SKIP_3) | instid1(VALU_DEP_4)
	v_mul_lo_u32 v20, v27, s19
	v_mul_u64_e32 v[26:27], s[4:5], v[28:29]
	v_mad_u32 v26, v35, s9, v6
	v_mul_lo_u32 v21, v21, s19
	v_sub_nc_u32_e32 v20, v6, v20
	v_lshrrev_b32_e32 v6, 22, v24
	v_mad_u32 v23, v34, s9, v22
	v_mad_u32 v29, v36, s9, v28
	s_delay_alu instid0(VALU_DEP_4) | instskip(NEXT) | instid1(VALU_DEP_4)
	v_cmp_le_u32_e64 s3, s19, v20
	v_mul_u64_e32 v[24:25], s[4:5], v[6:7]
	v_mad_u32 v38, v37, s9, v6
	v_mul_lo_u32 v24, v27, s19
	s_delay_alu instid0(VALU_DEP_1) | instskip(SKIP_1) | instid1(VALU_DEP_2)
	v_dual_sub_nc_u32 v21, v22, v21 :: v_dual_sub_nc_u32 v22, v28, v24
	v_subrev_nc_u32_e32 v24, s19, v20
	v_subrev_nc_u32_e32 v27, s19, v21
	v_cmp_le_u32_e32 vcc_lo, s19, v21
	v_mul_lo_u32 v25, v25, s19
	s_delay_alu instid0(VALU_DEP_4) | instskip(SKIP_3) | instid1(VALU_DEP_4)
	v_cndmask_b32_e64 v20, v20, v24, s3
	v_subrev_nc_u32_e32 v28, s19, v22
	v_cndmask_b32_e32 v21, v21, v27, vcc_lo
	v_cmp_le_u32_e64 s2, s19, v22
	v_subrev_nc_u32_e32 v24, s19, v20
	v_cmp_le_u32_e64 s3, s19, v20
	s_delay_alu instid0(VALU_DEP_4) | instskip(SKIP_2) | instid1(VALU_DEP_4)
	v_subrev_nc_u32_e32 v27, s19, v21
	v_cmp_le_u32_e32 vcc_lo, s19, v21
	v_cndmask_b32_e64 v22, v22, v28, s2
	v_dual_sub_nc_u32 v6, v6, v25 :: v_dual_cndmask_b32 v20, v20, v24, s3
	s_delay_alu instid0(VALU_DEP_4) | instskip(NEXT) | instid1(VALU_DEP_3)
	v_cndmask_b32_e32 v21, v21, v27, vcc_lo
	v_subrev_nc_u32_e32 v28, s19, v22
	s_delay_alu instid0(VALU_DEP_3)
	v_subrev_nc_u32_e32 v24, s19, v6
	v_cmp_le_u32_e32 vcc_lo, s19, v6
	v_add_nc_u32_e32 v3, 0x80, v3
	v_cmp_le_u32_e64 s2, s19, v22
	v_mad_u32 v20, v35, s21, v20
	v_mad_u32 v21, v34, s21, v21
	v_cndmask_b32_e32 v6, v6, v24, vcc_lo
	s_delay_alu instid0(VALU_DEP_4) | instskip(NEXT) | instid1(VALU_DEP_2)
	v_cndmask_b32_e64 v22, v22, v28, s2
	v_subrev_nc_u32_e32 v24, s19, v6
	v_cmp_le_u32_e32 vcc_lo, s19, v6
	v_add_nc_u32_e32 v17, 0x200, v17
	s_delay_alu instid0(VALU_DEP_4) | instskip(NEXT) | instid1(VALU_DEP_4)
	v_mad_u32 v22, v36, s21, v22
	v_cndmask_b32_e32 v6, v6, v24, vcc_lo
	v_cmp_eq_u32_e32 vcc_lo, 0, v18
	s_delay_alu instid0(VALU_DEP_2)
	v_mad_u32 v6, v37, s21, v6
	s_or_b32 s22, vcc_lo, s22
	s_clause 0x1
	global_store_b32 v31, v20, s[12:13] scale_offset
	global_store_b32 v31, v26, s[14:15] scale_offset
	s_clause 0x1
	global_store_b32 v30, v21, s[12:13] scale_offset
	global_store_b32 v30, v23, s[14:15] scale_offset
	s_clause 0x1
	global_store_b32 v33, v6, s[12:13] scale_offset
	global_store_b32 v33, v38, s[14:15] scale_offset
	s_clause 0x1
	global_store_b32 v32, v22, s[12:13] scale_offset
	global_store_b32 v32, v29, s[14:15] scale_offset
	s_wait_xcnt 0x0
	s_and_not1_b32 exec_lo, exec_lo, s22
	s_cbranch_execnz .LBB6_22
; %bb.23:
	s_or_b32 exec_lo, exec_lo, s22
	v_lshlrev_b32_e32 v4, 5, v19
.LBB6_24:
	s_or_b32 exec_lo, exec_lo, s18
	v_and_b32_e32 v1, 2, v16
	s_mov_b32 s2, exec_lo
	s_delay_alu instid0(VALU_DEP_1)
	v_cmpx_eq_u32_e32 0, v1
	s_cbranch_execz .LBB6_26
; %bb.25:
	v_add_nc_u32_e32 v1, v0, v4
	s_abs_i32 s3, s10
	v_add_nc_u32_e32 v3, v3, v9
	s_cvt_f32_u32 s4, s3
	s_sub_co_i32 s5, 0, s3
	v_lshl_add_u32 v1, v1, 2, 0
	v_add_nc_u32_e32 v2, v2, v9
	v_rcp_iflag_f32_e32 v4, s4
	ds_load_2addr_b32 v[6:7], v1 offset1:32
	v_nop
	v_readfirstlane_b32 s4, v4
	s_mul_f32 s4, s4, 0x4f7ffffe
	s_delay_alu instid0(SALU_CYCLE_3) | instskip(NEXT) | instid1(SALU_CYCLE_3)
	s_cvt_u32_f32 s4, s4
	s_mul_i32 s5, s5, s4
	s_delay_alu instid0(SALU_CYCLE_1) | instskip(SKIP_4) | instid1(VALU_DEP_2)
	s_mul_hi_u32 s5, s4, s5
	s_wait_dscnt 0x0
	v_lshrrev_b32_e32 v4, 22, v7
	s_add_co_i32 s4, s4, s5
	v_and_b32_e32 v7, 0x3fffff, v7
	v_mul_hi_u32 v17, v4, s4
	s_delay_alu instid0(VALU_DEP_1) | instskip(SKIP_2) | instid1(VALU_DEP_3)
	v_mul_lo_u32 v17, v17, s3
	v_lshrrev_b32_e32 v1, 22, v6
	v_and_b32_e32 v6, 0x3fffff, v6
	v_sub_nc_u32_e32 v17, v4, v17
	s_delay_alu instid0(VALU_DEP_3) | instskip(SKIP_1) | instid1(VALU_DEP_3)
	v_mul_hi_u32 v16, v1, s4
	v_mad_u32 v4, v7, s9, v4
	v_subrev_nc_u32_e32 v19, s3, v17
	s_delay_alu instid0(VALU_DEP_3) | instskip(NEXT) | instid1(VALU_DEP_1)
	v_mul_lo_u32 v16, v16, s3
	v_sub_nc_u32_e32 v16, v1, v16
	v_mad_u32 v1, v6, s9, v1
	s_delay_alu instid0(VALU_DEP_2) | instskip(SKIP_1) | instid1(VALU_DEP_2)
	v_subrev_nc_u32_e32 v18, s3, v16
	v_cmp_le_u32_e32 vcc_lo, s3, v16
	v_cndmask_b32_e32 v16, v16, v18, vcc_lo
	v_cmp_le_u32_e32 vcc_lo, s3, v17
	v_cndmask_b32_e32 v17, v17, v19, vcc_lo
	s_delay_alu instid0(VALU_DEP_3) | instskip(SKIP_1) | instid1(VALU_DEP_3)
	v_subrev_nc_u32_e32 v18, s3, v16
	v_cmp_le_u32_e32 vcc_lo, s3, v16
	v_subrev_nc_u32_e32 v19, s3, v17
	s_delay_alu instid0(VALU_DEP_3) | instskip(SKIP_1) | instid1(VALU_DEP_3)
	v_cndmask_b32_e32 v16, v16, v18, vcc_lo
	v_cmp_le_u32_e32 vcc_lo, s3, v17
	v_cndmask_b32_e32 v17, v17, v19, vcc_lo
	s_delay_alu instid0(VALU_DEP_3) | instskip(NEXT) | instid1(VALU_DEP_2)
	v_mad_u32 v16, v6, s21, v16
	v_mad_u32 v6, v7, s21, v17
	s_clause 0x1
	global_store_b32 v2, v16, s[12:13] scale_offset
	global_store_b32 v2, v1, s[14:15] scale_offset
	s_clause 0x1
	global_store_b32 v3, v6, s[12:13] scale_offset
	global_store_b32 v3, v4, s[14:15] scale_offset
.LBB6_26:
	s_wait_xcnt 0x0
	s_or_b32 exec_lo, exec_lo, s2
	v_add_nc_u32_e32 v1, 1, v15
	s_delay_alu instid0(VALU_DEP_1) | instskip(NEXT) | instid1(VALU_DEP_1)
	v_and_b32_e32 v2, 0xffffffe, v1
	v_cmp_ne_u32_e32 vcc_lo, v1, v2
	v_lshl_or_b32 v6, v2, 5, v0
	s_or_not1_b32 s2, vcc_lo, exec_lo
.LBB6_27:
	s_or_b32 exec_lo, exec_lo, s17
	s_delay_alu instid0(SALU_CYCLE_1) | instskip(SKIP_1) | instid1(SALU_CYCLE_1)
	s_and_not1_b32 s3, s11, exec_lo
	s_and_b32 s2, s2, exec_lo
	s_or_b32 s11, s3, s2
.LBB6_28:
	s_or_b32 exec_lo, exec_lo, s16
	s_delay_alu instid0(SALU_CYCLE_1)
	s_and_b32 exec_lo, exec_lo, s11
	s_cbranch_execz .LBB6_31
; %bb.29:
	s_abs_i32 s4, s10
	v_mov_b32_e32 v3, 0
	s_cvt_f32_u32 s2, s4
	s_sub_co_i32 s3, 0, s4
	s_delay_alu instid0(SALU_CYCLE_2) | instskip(SKIP_1) | instid1(TRANS32_DEP_1)
	v_rcp_iflag_f32_e32 v1, s2
	v_nop
	v_readfirstlane_b32 s2, v1
	v_add3_u32 v1, v10, v11, v12
	s_mul_f32 s2, s2, 0x4f7ffffe
	s_delay_alu instid0(VALU_DEP_1) | instskip(SKIP_1) | instid1(SALU_CYCLE_1)
	v_add3_u32 v2, v1, v13, v14
	v_lshl_add_u32 v1, v6, 2, 0
	s_cvt_u32_f32 s2, s2
	s_delay_alu instid0(VALU_DEP_2) | instskip(NEXT) | instid1(SALU_CYCLE_2)
	v_add3_u32 v4, v2, v6, v8
	s_mul_i32 s3, s3, s2
	s_delay_alu instid0(SALU_CYCLE_1)
	s_mul_hi_u32 s5, s2, s3
	s_mov_b32 s3, 0
	s_add_co_i32 s2, s2, s5
	s_mov_b32 s5, s3
.LBB6_30:                               ; =>This Inner Loop Header: Depth=1
	ds_load_b32 v7, v1
	v_add_nc_u32_e32 v6, 32, v6
	v_add_nc_u32_e32 v1, 0x80, v1
	s_wait_dscnt 0x0
	v_lshrrev_b32_e32 v2, 22, v7
	v_and_b32_e32 v7, 0x3fffff, v7
	s_delay_alu instid0(VALU_DEP_2) | instskip(NEXT) | instid1(VALU_DEP_1)
	v_mul_u64_e32 v[10:11], s[2:3], v[2:3]
	v_mul_lo_u32 v8, v11, s4
	s_delay_alu instid0(VALU_DEP_1) | instskip(NEXT) | instid1(VALU_DEP_1)
	v_sub_nc_u32_e32 v8, v2, v8
	v_subrev_nc_u32_e32 v10, s4, v8
	v_cmp_le_u32_e32 vcc_lo, s4, v8
	s_delay_alu instid0(VALU_DEP_2) | instskip(SKIP_1) | instid1(VALU_DEP_2)
	v_cndmask_b32_e32 v8, v8, v10, vcc_lo
	v_mad_u32 v2, v7, s9, v2
	v_subrev_nc_u32_e32 v10, s4, v8
	v_cmp_le_u32_e32 vcc_lo, s4, v8
	s_delay_alu instid0(VALU_DEP_2) | instskip(SKIP_1) | instid1(VALU_DEP_2)
	v_cndmask_b32_e32 v8, v8, v10, vcc_lo
	v_cmp_ge_u32_e32 vcc_lo, v6, v5
	v_mad_u32 v7, v7, s21, v8
	s_or_b32 s5, vcc_lo, s5
	s_clause 0x1
	global_store_b32 v4, v7, s[12:13] scale_offset
	global_store_b32 v4, v2, s[14:15] scale_offset
	s_wait_xcnt 0x0
	v_add_nc_u32_e32 v4, 32, v4
	s_and_not1_b32 exec_lo, exec_lo, s5
	s_cbranch_execnz .LBB6_30
.LBB6_31:
	s_or_b32 exec_lo, exec_lo, s8
	s_delay_alu instid0(SALU_CYCLE_1)
	s_mov_b32 s2, exec_lo
	v_cmpx_eq_u32_e32 0, v0
	s_cbranch_execz .LBB6_34
; %bb.32:
	s_wait_xcnt 0x0
	s_load_b32 s0, s[0:1], 0x38
	v_mov_b32_e32 v0, s20
	global_store_b32 v0, v9, s[6:7] scale_offset
	s_wait_kmcnt 0x0
	s_add_co_i32 s1, s0, -1
	s_delay_alu instid0(SALU_CYCLE_1)
	s_cmp_lt_i32 s20, s1
	s_cbranch_scc1 .LBB6_34
; %bb.33:
	s_wait_xcnt 0x0
	v_dual_mov_b32 v1, s0 :: v_dual_add_nc_u32 v0, v9, v5
	global_store_b32 v1, v0, s[6:7] scale_offset
.LBB6_34:
	s_endpgm
	.section	.rodata,"a",@progbits
	.p2align	6, 0x0
	.amdhsa_kernel _ZL13mm_ids_helperILi0EEvPKiPiS2_S2_iiiii
		.amdhsa_group_segment_fixed_size 0
		.amdhsa_private_segment_fixed_size 0
		.amdhsa_kernarg_size 312
		.amdhsa_user_sgpr_count 2
		.amdhsa_user_sgpr_dispatch_ptr 0
		.amdhsa_user_sgpr_queue_ptr 0
		.amdhsa_user_sgpr_kernarg_segment_ptr 1
		.amdhsa_user_sgpr_dispatch_id 0
		.amdhsa_user_sgpr_kernarg_preload_length 0
		.amdhsa_user_sgpr_kernarg_preload_offset 0
		.amdhsa_user_sgpr_private_segment_size 0
		.amdhsa_wavefront_size32 1
		.amdhsa_uses_dynamic_stack 0
		.amdhsa_enable_private_segment 0
		.amdhsa_system_sgpr_workgroup_id_x 1
		.amdhsa_system_sgpr_workgroup_id_y 0
		.amdhsa_system_sgpr_workgroup_id_z 0
		.amdhsa_system_sgpr_workgroup_info 0
		.amdhsa_system_vgpr_workitem_id 0
		.amdhsa_next_free_vgpr 39
		.amdhsa_next_free_sgpr 30
		.amdhsa_named_barrier_count 0
		.amdhsa_reserve_vcc 1
		.amdhsa_float_round_mode_32 0
		.amdhsa_float_round_mode_16_64 0
		.amdhsa_float_denorm_mode_32 3
		.amdhsa_float_denorm_mode_16_64 3
		.amdhsa_fp16_overflow 0
		.amdhsa_memory_ordered 1
		.amdhsa_forward_progress 1
		.amdhsa_inst_pref_size 21
		.amdhsa_round_robin_scheduling 0
		.amdhsa_exception_fp_ieee_invalid_op 0
		.amdhsa_exception_fp_denorm_src 0
		.amdhsa_exception_fp_ieee_div_zero 0
		.amdhsa_exception_fp_ieee_overflow 0
		.amdhsa_exception_fp_ieee_underflow 0
		.amdhsa_exception_fp_ieee_inexact 0
		.amdhsa_exception_int_div_zero 0
	.end_amdhsa_kernel
	.section	.text._ZL13mm_ids_helperILi0EEvPKiPiS2_S2_iiiii,"axG",@progbits,_ZL13mm_ids_helperILi0EEvPKiPiS2_S2_iiiii,comdat
.Lfunc_end6:
	.size	_ZL13mm_ids_helperILi0EEvPKiPiS2_S2_iiiii, .Lfunc_end6-_ZL13mm_ids_helperILi0EEvPKiPiS2_S2_iiiii
                                        ; -- End function
	.set _ZL13mm_ids_helperILi0EEvPKiPiS2_S2_iiiii.num_vgpr, 39
	.set _ZL13mm_ids_helperILi0EEvPKiPiS2_S2_iiiii.num_agpr, 0
	.set _ZL13mm_ids_helperILi0EEvPKiPiS2_S2_iiiii.numbered_sgpr, 30
	.set _ZL13mm_ids_helperILi0EEvPKiPiS2_S2_iiiii.num_named_barrier, 0
	.set _ZL13mm_ids_helperILi0EEvPKiPiS2_S2_iiiii.private_seg_size, 0
	.set _ZL13mm_ids_helperILi0EEvPKiPiS2_S2_iiiii.uses_vcc, 1
	.set _ZL13mm_ids_helperILi0EEvPKiPiS2_S2_iiiii.uses_flat_scratch, 0
	.set _ZL13mm_ids_helperILi0EEvPKiPiS2_S2_iiiii.has_dyn_sized_stack, 0
	.set _ZL13mm_ids_helperILi0EEvPKiPiS2_S2_iiiii.has_recursion, 0
	.set _ZL13mm_ids_helperILi0EEvPKiPiS2_S2_iiiii.has_indirect_call, 0
	.section	.AMDGPU.csdata,"",@progbits
; Kernel info:
; codeLenInByte = 2588
; TotalNumSgprs: 32
; NumVgprs: 39
; ScratchSize: 0
; MemoryBound: 0
; FloatMode: 240
; IeeeMode: 1
; LDSByteSize: 0 bytes/workgroup (compile time only)
; SGPRBlocks: 0
; VGPRBlocks: 2
; NumSGPRsForWavesPerEU: 32
; NumVGPRsForWavesPerEU: 39
; NamedBarCnt: 0
; Occupancy: 16
; WaveLimiterHint : 0
; COMPUTE_PGM_RSRC2:SCRATCH_EN: 0
; COMPUTE_PGM_RSRC2:USER_SGPR: 2
; COMPUTE_PGM_RSRC2:TRAP_HANDLER: 0
; COMPUTE_PGM_RSRC2:TGID_X_EN: 1
; COMPUTE_PGM_RSRC2:TGID_Y_EN: 0
; COMPUTE_PGM_RSRC2:TGID_Z_EN: 0
; COMPUTE_PGM_RSRC2:TIDIG_COMP_CNT: 0
	.section	.AMDGPU.gpr_maximums,"",@progbits
	.set amdgpu.max_num_vgpr, 0
	.set amdgpu.max_num_agpr, 0
	.set amdgpu.max_num_sgpr, 0
	.section	.AMDGPU.csdata,"",@progbits
	.type	__hip_cuid_4d55588be0119b9,@object ; @__hip_cuid_4d55588be0119b9
	.section	.bss,"aw",@nobits
	.globl	__hip_cuid_4d55588be0119b9
__hip_cuid_4d55588be0119b9:
	.byte	0                               ; 0x0
	.size	__hip_cuid_4d55588be0119b9, 1

	.ident	"AMD clang version 22.0.0git (https://github.com/RadeonOpenCompute/llvm-project roc-7.2.4 26084 f58b06dce1f9c15707c5f808fd002e18c2accf7e)"
	.section	".note.GNU-stack","",@progbits
	.addrsig
	.addrsig_sym __hip_cuid_4d55588be0119b9
	.amdgpu_metadata
---
amdhsa.kernels:
  - .args:
      - .actual_access:  read_only
        .address_space:  global
        .offset:         0
        .size:           8
        .value_kind:     global_buffer
      - .actual_access:  write_only
        .address_space:  global
        .offset:         8
        .size:           8
        .value_kind:     global_buffer
      - .actual_access:  write_only
        .address_space:  global
        .offset:         16
        .size:           8
        .value_kind:     global_buffer
      - .actual_access:  write_only
        .address_space:  global
        .offset:         24
        .size:           8
        .value_kind:     global_buffer
      - .offset:         32
        .size:           4
        .value_kind:     by_value
      - .offset:         36
        .size:           4
        .value_kind:     by_value
      - .offset:         40
        .size:           4
        .value_kind:     by_value
      - .offset:         44
        .size:           4
        .value_kind:     by_value
      - .offset:         48
        .size:           4
        .value_kind:     by_value
      - .offset:         56
        .size:           4
        .value_kind:     hidden_block_count_x
      - .offset:         60
        .size:           4
        .value_kind:     hidden_block_count_y
      - .offset:         64
        .size:           4
        .value_kind:     hidden_block_count_z
      - .offset:         68
        .size:           2
        .value_kind:     hidden_group_size_x
      - .offset:         70
        .size:           2
        .value_kind:     hidden_group_size_y
      - .offset:         72
        .size:           2
        .value_kind:     hidden_group_size_z
      - .offset:         74
        .size:           2
        .value_kind:     hidden_remainder_x
      - .offset:         76
        .size:           2
        .value_kind:     hidden_remainder_y
      - .offset:         78
        .size:           2
        .value_kind:     hidden_remainder_z
      - .offset:         96
        .size:           8
        .value_kind:     hidden_global_offset_x
      - .offset:         104
        .size:           8
        .value_kind:     hidden_global_offset_y
      - .offset:         112
        .size:           8
        .value_kind:     hidden_global_offset_z
      - .offset:         120
        .size:           2
        .value_kind:     hidden_grid_dims
      - .offset:         176
        .size:           4
        .value_kind:     hidden_dynamic_lds_size
    .group_segment_fixed_size: 0
    .kernarg_segment_align: 8
    .kernarg_segment_size: 312
    .language:       OpenCL C
    .language_version:
      - 2
      - 0
    .max_flat_workgroup_size: 32
    .name:           _ZL13mm_ids_helperILi2EEvPKiPiS2_S2_iiiii
    .private_segment_fixed_size: 0
    .sgpr_count:     33
    .sgpr_spill_count: 0
    .symbol:         _ZL13mm_ids_helperILi2EEvPKiPiS2_S2_iiiii.kd
    .uniform_work_group_size: 1
    .uses_dynamic_stack: false
    .vgpr_count:     43
    .vgpr_spill_count: 0
    .wavefront_size: 32
  - .args:
      - .actual_access:  read_only
        .address_space:  global
        .offset:         0
        .size:           8
        .value_kind:     global_buffer
      - .actual_access:  write_only
        .address_space:  global
        .offset:         8
        .size:           8
        .value_kind:     global_buffer
      - .actual_access:  write_only
        .address_space:  global
        .offset:         16
        .size:           8
        .value_kind:     global_buffer
      - .actual_access:  write_only
        .address_space:  global
        .offset:         24
        .size:           8
        .value_kind:     global_buffer
      - .offset:         32
        .size:           4
        .value_kind:     by_value
      - .offset:         36
        .size:           4
        .value_kind:     by_value
      - .offset:         40
        .size:           4
        .value_kind:     by_value
      - .offset:         44
        .size:           4
        .value_kind:     by_value
      - .offset:         48
        .size:           4
        .value_kind:     by_value
      - .offset:         56
        .size:           4
        .value_kind:     hidden_block_count_x
      - .offset:         60
        .size:           4
        .value_kind:     hidden_block_count_y
      - .offset:         64
        .size:           4
        .value_kind:     hidden_block_count_z
      - .offset:         68
        .size:           2
        .value_kind:     hidden_group_size_x
      - .offset:         70
        .size:           2
        .value_kind:     hidden_group_size_y
      - .offset:         72
        .size:           2
        .value_kind:     hidden_group_size_z
      - .offset:         74
        .size:           2
        .value_kind:     hidden_remainder_x
      - .offset:         76
        .size:           2
        .value_kind:     hidden_remainder_y
      - .offset:         78
        .size:           2
        .value_kind:     hidden_remainder_z
      - .offset:         96
        .size:           8
        .value_kind:     hidden_global_offset_x
      - .offset:         104
        .size:           8
        .value_kind:     hidden_global_offset_y
      - .offset:         112
        .size:           8
        .value_kind:     hidden_global_offset_z
      - .offset:         120
        .size:           2
        .value_kind:     hidden_grid_dims
      - .offset:         176
        .size:           4
        .value_kind:     hidden_dynamic_lds_size
    .group_segment_fixed_size: 0
    .kernarg_segment_align: 8
    .kernarg_segment_size: 312
    .language:       OpenCL C
    .language_version:
      - 2
      - 0
    .max_flat_workgroup_size: 32
    .name:           _ZL13mm_ids_helperILi4EEvPKiPiS2_S2_iiiii
    .private_segment_fixed_size: 0
    .sgpr_count:     25
    .sgpr_spill_count: 0
    .symbol:         _ZL13mm_ids_helperILi4EEvPKiPiS2_S2_iiiii.kd
    .uniform_work_group_size: 1
    .uses_dynamic_stack: false
    .vgpr_count:     38
    .vgpr_spill_count: 0
    .wavefront_size: 32
  - .args:
      - .actual_access:  read_only
        .address_space:  global
        .offset:         0
        .size:           8
        .value_kind:     global_buffer
      - .actual_access:  write_only
        .address_space:  global
        .offset:         8
        .size:           8
        .value_kind:     global_buffer
      - .actual_access:  write_only
        .address_space:  global
        .offset:         16
        .size:           8
        .value_kind:     global_buffer
      - .actual_access:  write_only
        .address_space:  global
        .offset:         24
        .size:           8
        .value_kind:     global_buffer
      - .offset:         32
        .size:           4
        .value_kind:     by_value
      - .offset:         36
        .size:           4
        .value_kind:     by_value
      - .offset:         40
        .size:           4
        .value_kind:     by_value
      - .offset:         44
        .size:           4
        .value_kind:     by_value
      - .offset:         48
        .size:           4
        .value_kind:     by_value
      - .offset:         56
        .size:           4
        .value_kind:     hidden_block_count_x
      - .offset:         60
        .size:           4
        .value_kind:     hidden_block_count_y
      - .offset:         64
        .size:           4
        .value_kind:     hidden_block_count_z
      - .offset:         68
        .size:           2
        .value_kind:     hidden_group_size_x
      - .offset:         70
        .size:           2
        .value_kind:     hidden_group_size_y
      - .offset:         72
        .size:           2
        .value_kind:     hidden_group_size_z
      - .offset:         74
        .size:           2
        .value_kind:     hidden_remainder_x
      - .offset:         76
        .size:           2
        .value_kind:     hidden_remainder_y
      - .offset:         78
        .size:           2
        .value_kind:     hidden_remainder_z
      - .offset:         96
        .size:           8
        .value_kind:     hidden_global_offset_x
      - .offset:         104
        .size:           8
        .value_kind:     hidden_global_offset_y
      - .offset:         112
        .size:           8
        .value_kind:     hidden_global_offset_z
      - .offset:         120
        .size:           2
        .value_kind:     hidden_grid_dims
      - .offset:         176
        .size:           4
        .value_kind:     hidden_dynamic_lds_size
    .group_segment_fixed_size: 0
    .kernarg_segment_align: 8
    .kernarg_segment_size: 312
    .language:       OpenCL C
    .language_version:
      - 2
      - 0
    .max_flat_workgroup_size: 32
    .name:           _ZL13mm_ids_helperILi6EEvPKiPiS2_S2_iiiii
    .private_segment_fixed_size: 0
    .sgpr_count:     25
    .sgpr_spill_count: 0
    .symbol:         _ZL13mm_ids_helperILi6EEvPKiPiS2_S2_iiiii.kd
    .uniform_work_group_size: 1
    .uses_dynamic_stack: false
    .vgpr_count:     38
    .vgpr_spill_count: 0
    .wavefront_size: 32
  - .args:
      - .actual_access:  read_only
        .address_space:  global
        .offset:         0
        .size:           8
        .value_kind:     global_buffer
      - .actual_access:  write_only
        .address_space:  global
        .offset:         8
        .size:           8
        .value_kind:     global_buffer
      - .actual_access:  write_only
        .address_space:  global
        .offset:         16
        .size:           8
        .value_kind:     global_buffer
      - .actual_access:  write_only
        .address_space:  global
        .offset:         24
        .size:           8
        .value_kind:     global_buffer
      - .offset:         32
        .size:           4
        .value_kind:     by_value
      - .offset:         36
        .size:           4
        .value_kind:     by_value
      - .offset:         40
        .size:           4
        .value_kind:     by_value
      - .offset:         44
        .size:           4
        .value_kind:     by_value
      - .offset:         48
        .size:           4
        .value_kind:     by_value
      - .offset:         56
        .size:           4
        .value_kind:     hidden_block_count_x
      - .offset:         60
        .size:           4
        .value_kind:     hidden_block_count_y
      - .offset:         64
        .size:           4
        .value_kind:     hidden_block_count_z
      - .offset:         68
        .size:           2
        .value_kind:     hidden_group_size_x
      - .offset:         70
        .size:           2
        .value_kind:     hidden_group_size_y
      - .offset:         72
        .size:           2
        .value_kind:     hidden_group_size_z
      - .offset:         74
        .size:           2
        .value_kind:     hidden_remainder_x
      - .offset:         76
        .size:           2
        .value_kind:     hidden_remainder_y
      - .offset:         78
        .size:           2
        .value_kind:     hidden_remainder_z
      - .offset:         96
        .size:           8
        .value_kind:     hidden_global_offset_x
      - .offset:         104
        .size:           8
        .value_kind:     hidden_global_offset_y
      - .offset:         112
        .size:           8
        .value_kind:     hidden_global_offset_z
      - .offset:         120
        .size:           2
        .value_kind:     hidden_grid_dims
      - .offset:         176
        .size:           4
        .value_kind:     hidden_dynamic_lds_size
    .group_segment_fixed_size: 0
    .kernarg_segment_align: 8
    .kernarg_segment_size: 312
    .language:       OpenCL C
    .language_version:
      - 2
      - 0
    .max_flat_workgroup_size: 32
    .name:           _ZL13mm_ids_helperILi8EEvPKiPiS2_S2_iiiii
    .private_segment_fixed_size: 0
    .sgpr_count:     25
    .sgpr_spill_count: 0
    .symbol:         _ZL13mm_ids_helperILi8EEvPKiPiS2_S2_iiiii.kd
    .uniform_work_group_size: 1
    .uses_dynamic_stack: false
    .vgpr_count:     38
    .vgpr_spill_count: 0
    .wavefront_size: 32
  - .args:
      - .actual_access:  read_only
        .address_space:  global
        .offset:         0
        .size:           8
        .value_kind:     global_buffer
      - .actual_access:  write_only
        .address_space:  global
        .offset:         8
        .size:           8
        .value_kind:     global_buffer
      - .actual_access:  write_only
        .address_space:  global
        .offset:         16
        .size:           8
        .value_kind:     global_buffer
      - .actual_access:  write_only
        .address_space:  global
        .offset:         24
        .size:           8
        .value_kind:     global_buffer
      - .offset:         32
        .size:           4
        .value_kind:     by_value
      - .offset:         36
        .size:           4
        .value_kind:     by_value
      - .offset:         40
        .size:           4
        .value_kind:     by_value
      - .offset:         44
        .size:           4
        .value_kind:     by_value
      - .offset:         48
        .size:           4
        .value_kind:     by_value
      - .offset:         56
        .size:           4
        .value_kind:     hidden_block_count_x
      - .offset:         60
        .size:           4
        .value_kind:     hidden_block_count_y
      - .offset:         64
        .size:           4
        .value_kind:     hidden_block_count_z
      - .offset:         68
        .size:           2
        .value_kind:     hidden_group_size_x
      - .offset:         70
        .size:           2
        .value_kind:     hidden_group_size_y
      - .offset:         72
        .size:           2
        .value_kind:     hidden_group_size_z
      - .offset:         74
        .size:           2
        .value_kind:     hidden_remainder_x
      - .offset:         76
        .size:           2
        .value_kind:     hidden_remainder_y
      - .offset:         78
        .size:           2
        .value_kind:     hidden_remainder_z
      - .offset:         96
        .size:           8
        .value_kind:     hidden_global_offset_x
      - .offset:         104
        .size:           8
        .value_kind:     hidden_global_offset_y
      - .offset:         112
        .size:           8
        .value_kind:     hidden_global_offset_z
      - .offset:         120
        .size:           2
        .value_kind:     hidden_grid_dims
      - .offset:         176
        .size:           4
        .value_kind:     hidden_dynamic_lds_size
    .group_segment_fixed_size: 0
    .kernarg_segment_align: 8
    .kernarg_segment_size: 312
    .language:       OpenCL C
    .language_version:
      - 2
      - 0
    .max_flat_workgroup_size: 32
    .name:           _ZL13mm_ids_helperILi16EEvPKiPiS2_S2_iiiii
    .private_segment_fixed_size: 0
    .sgpr_count:     25
    .sgpr_spill_count: 0
    .symbol:         _ZL13mm_ids_helperILi16EEvPKiPiS2_S2_iiiii.kd
    .uniform_work_group_size: 1
    .uses_dynamic_stack: false
    .vgpr_count:     38
    .vgpr_spill_count: 0
    .wavefront_size: 32
  - .args:
      - .actual_access:  read_only
        .address_space:  global
        .offset:         0
        .size:           8
        .value_kind:     global_buffer
      - .actual_access:  write_only
        .address_space:  global
        .offset:         8
        .size:           8
        .value_kind:     global_buffer
      - .actual_access:  write_only
        .address_space:  global
        .offset:         16
        .size:           8
        .value_kind:     global_buffer
      - .actual_access:  write_only
        .address_space:  global
        .offset:         24
        .size:           8
        .value_kind:     global_buffer
      - .offset:         32
        .size:           4
        .value_kind:     by_value
      - .offset:         36
        .size:           4
        .value_kind:     by_value
      - .offset:         40
        .size:           4
        .value_kind:     by_value
      - .offset:         44
        .size:           4
        .value_kind:     by_value
      - .offset:         48
        .size:           4
        .value_kind:     by_value
      - .offset:         56
        .size:           4
        .value_kind:     hidden_block_count_x
      - .offset:         60
        .size:           4
        .value_kind:     hidden_block_count_y
      - .offset:         64
        .size:           4
        .value_kind:     hidden_block_count_z
      - .offset:         68
        .size:           2
        .value_kind:     hidden_group_size_x
      - .offset:         70
        .size:           2
        .value_kind:     hidden_group_size_y
      - .offset:         72
        .size:           2
        .value_kind:     hidden_group_size_z
      - .offset:         74
        .size:           2
        .value_kind:     hidden_remainder_x
      - .offset:         76
        .size:           2
        .value_kind:     hidden_remainder_y
      - .offset:         78
        .size:           2
        .value_kind:     hidden_remainder_z
      - .offset:         96
        .size:           8
        .value_kind:     hidden_global_offset_x
      - .offset:         104
        .size:           8
        .value_kind:     hidden_global_offset_y
      - .offset:         112
        .size:           8
        .value_kind:     hidden_global_offset_z
      - .offset:         120
        .size:           2
        .value_kind:     hidden_grid_dims
      - .offset:         176
        .size:           4
        .value_kind:     hidden_dynamic_lds_size
    .group_segment_fixed_size: 0
    .kernarg_segment_align: 8
    .kernarg_segment_size: 312
    .language:       OpenCL C
    .language_version:
      - 2
      - 0
    .max_flat_workgroup_size: 32
    .name:           _ZL13mm_ids_helperILi32EEvPKiPiS2_S2_iiiii
    .private_segment_fixed_size: 0
    .sgpr_count:     25
    .sgpr_spill_count: 0
    .symbol:         _ZL13mm_ids_helperILi32EEvPKiPiS2_S2_iiiii.kd
    .uniform_work_group_size: 1
    .uses_dynamic_stack: false
    .vgpr_count:     38
    .vgpr_spill_count: 0
    .wavefront_size: 32
  - .args:
      - .actual_access:  read_only
        .address_space:  global
        .offset:         0
        .size:           8
        .value_kind:     global_buffer
      - .actual_access:  write_only
        .address_space:  global
        .offset:         8
        .size:           8
        .value_kind:     global_buffer
      - .actual_access:  write_only
        .address_space:  global
        .offset:         16
        .size:           8
        .value_kind:     global_buffer
      - .actual_access:  write_only
        .address_space:  global
        .offset:         24
        .size:           8
        .value_kind:     global_buffer
      - .offset:         32
        .size:           4
        .value_kind:     by_value
      - .offset:         36
        .size:           4
        .value_kind:     by_value
      - .offset:         40
        .size:           4
        .value_kind:     by_value
      - .offset:         44
        .size:           4
        .value_kind:     by_value
      - .offset:         48
        .size:           4
        .value_kind:     by_value
      - .offset:         56
        .size:           4
        .value_kind:     hidden_block_count_x
      - .offset:         60
        .size:           4
        .value_kind:     hidden_block_count_y
      - .offset:         64
        .size:           4
        .value_kind:     hidden_block_count_z
      - .offset:         68
        .size:           2
        .value_kind:     hidden_group_size_x
      - .offset:         70
        .size:           2
        .value_kind:     hidden_group_size_y
      - .offset:         72
        .size:           2
        .value_kind:     hidden_group_size_z
      - .offset:         74
        .size:           2
        .value_kind:     hidden_remainder_x
      - .offset:         76
        .size:           2
        .value_kind:     hidden_remainder_y
      - .offset:         78
        .size:           2
        .value_kind:     hidden_remainder_z
      - .offset:         96
        .size:           8
        .value_kind:     hidden_global_offset_x
      - .offset:         104
        .size:           8
        .value_kind:     hidden_global_offset_y
      - .offset:         112
        .size:           8
        .value_kind:     hidden_global_offset_z
      - .offset:         120
        .size:           2
        .value_kind:     hidden_grid_dims
      - .offset:         176
        .size:           4
        .value_kind:     hidden_dynamic_lds_size
    .group_segment_fixed_size: 0
    .kernarg_segment_align: 8
    .kernarg_segment_size: 312
    .language:       OpenCL C
    .language_version:
      - 2
      - 0
    .max_flat_workgroup_size: 32
    .name:           _ZL13mm_ids_helperILi0EEvPKiPiS2_S2_iiiii
    .private_segment_fixed_size: 0
    .sgpr_count:     32
    .sgpr_spill_count: 0
    .symbol:         _ZL13mm_ids_helperILi0EEvPKiPiS2_S2_iiiii.kd
    .uniform_work_group_size: 1
    .uses_dynamic_stack: false
    .vgpr_count:     39
    .vgpr_spill_count: 0
    .wavefront_size: 32
amdhsa.target:   amdgcn-amd-amdhsa--gfx1250
amdhsa.version:
  - 1
  - 2
...

	.end_amdgpu_metadata
